;; amdgpu-corpus repo=ROCm/rocSPARSE kind=compiled arch=gfx950 opt=O3
	.amdgcn_target "amdgcn-amd-amdhsa--gfx950"
	.amdhsa_code_object_version 6
	.section	.text._ZN9rocsparseL29bsrmm_general_blockdim_kernelILj32ELj32EiiffffEEvb20rocsparse_direction_T2_S2_llNS_24const_host_device_scalarIT6_EEPKT1_PKS2_PKT3_S2_PKT4_llS5_PT5_ll16rocsparse_order_21rocsparse_index_base_b,"axG",@progbits,_ZN9rocsparseL29bsrmm_general_blockdim_kernelILj32ELj32EiiffffEEvb20rocsparse_direction_T2_S2_llNS_24const_host_device_scalarIT6_EEPKT1_PKS2_PKT3_S2_PKT4_llS5_PT5_ll16rocsparse_order_21rocsparse_index_base_b,comdat
	.globl	_ZN9rocsparseL29bsrmm_general_blockdim_kernelILj32ELj32EiiffffEEvb20rocsparse_direction_T2_S2_llNS_24const_host_device_scalarIT6_EEPKT1_PKS2_PKT3_S2_PKT4_llS5_PT5_ll16rocsparse_order_21rocsparse_index_base_b ; -- Begin function _ZN9rocsparseL29bsrmm_general_blockdim_kernelILj32ELj32EiiffffEEvb20rocsparse_direction_T2_S2_llNS_24const_host_device_scalarIT6_EEPKT1_PKS2_PKT3_S2_PKT4_llS5_PT5_ll16rocsparse_order_21rocsparse_index_base_b
	.p2align	8
	.type	_ZN9rocsparseL29bsrmm_general_blockdim_kernelILj32ELj32EiiffffEEvb20rocsparse_direction_T2_S2_llNS_24const_host_device_scalarIT6_EEPKT1_PKS2_PKT3_S2_PKT4_llS5_PT5_ll16rocsparse_order_21rocsparse_index_base_b,@function
_ZN9rocsparseL29bsrmm_general_blockdim_kernelILj32ELj32EiiffffEEvb20rocsparse_direction_T2_S2_llNS_24const_host_device_scalarIT6_EEPKT1_PKS2_PKT3_S2_PKT4_llS5_PT5_ll16rocsparse_order_21rocsparse_index_base_b: ; @_ZN9rocsparseL29bsrmm_general_blockdim_kernelILj32ELj32EiiffffEEvb20rocsparse_direction_T2_S2_llNS_24const_host_device_scalarIT6_EEPKT1_PKS2_PKT3_S2_PKT4_llS5_PT5_ll16rocsparse_order_21rocsparse_index_base_b
; %bb.0:
	s_load_dwordx4 s[8:11], s[0:1], 0x80
	s_mov_b32 s4, s3
	s_waitcnt lgkmcnt(0)
	s_bitcmp1_b32 s10, 0
	s_load_dwordx2 s[6:7], s[0:1], 0x20
	s_load_dwordx2 s[10:11], s[0:1], 0x60
	s_cselect_b64 s[14:15], -1, 0
	s_xor_b64 s[12:13], s[14:15], -1
	s_and_b64 vcc, exec, s[14:15]
	s_cbranch_vccnz .LBB0_2
; %bb.1:
	s_waitcnt lgkmcnt(0)
	s_load_dword s6, s[6:7], 0x0
.LBB0_2:
	s_andn2_b64 vcc, exec, s[12:13]
	s_cbranch_vccnz .LBB0_4
; %bb.3:
	s_waitcnt lgkmcnt(0)
	s_load_dword s10, s[10:11], 0x0
.LBB0_4:
	s_waitcnt lgkmcnt(0)
	v_cmp_eq_f32_e64 s[12:13], s6, 0
	v_cmp_eq_f32_e64 s[14:15], s10, 1.0
	s_and_b64 s[12:13], s[12:13], s[14:15]
	s_mov_b32 s7, 0
	s_and_b64 vcc, exec, s[12:13]
	s_cbranch_vccnz .LBB0_55
; %bb.5:
	s_load_dwordx4 s[24:27], s[0:1], 0x0
	s_load_dwordx2 s[12:13], s[0:1], 0x28
	s_waitcnt lgkmcnt(0)
	s_cmp_lt_i32 s2, s26
	s_cselect_b64 s[30:31], -1, 0
	s_cmp_ge_i32 s2, s26
	s_cbranch_scc0 .LBB0_8
; %bb.6:
	s_andn2_b64 vcc, exec, s[30:31]
	s_mov_b32 s11, 0
	s_cbranch_vccz .LBB0_9
.LBB0_7:
	s_load_dword s33, s[0:1], 0x40
	s_waitcnt lgkmcnt(0)
	s_cmp_lt_i32 s33, 1
	s_cbranch_scc0 .LBB0_10
	s_branch .LBB0_55
.LBB0_8:
	s_ashr_i32 s3, s2, 31
	s_lshl_b64 s[14:15], s[2:3], 2
	s_add_u32 s14, s12, s14
	s_addc_u32 s15, s13, s15
	s_load_dword s3, s[14:15], 0x0
	s_waitcnt lgkmcnt(0)
	s_sub_i32 s7, s3, s9
	s_andn2_b64 vcc, exec, s[30:31]
	s_mov_b32 s11, 0
	s_cbranch_vccnz .LBB0_7
.LBB0_9:
	s_ashr_i32 s3, s2, 31
	s_lshl_b64 s[14:15], s[2:3], 2
	s_add_u32 s12, s12, s14
	s_addc_u32 s13, s13, s15
	s_load_dword s3, s[12:13], 0x4
	s_waitcnt lgkmcnt(0)
	s_sub_i32 s11, s3, s9
	s_load_dword s33, s[0:1], 0x40
	s_waitcnt lgkmcnt(0)
	s_cmp_lt_i32 s33, 1
	s_cbranch_scc1 .LBB0_55
.LBB0_10:
	s_load_dwordx4 s[12:15], s[0:1], 0x68
	s_load_dwordx4 s[16:19], s[0:1], 0x30
	s_load_dwordx4 s[20:23], s[0:1], 0x48
	v_and_b32_e32 v1, 0x3ff, v0
	v_bfe_u32 v0, v0, 10, 10
	v_lshl_add_u32 v8, s4, 5, v0
	s_bitcmp1_b32 s24, 0
	v_ashrrev_i32_e32 v9, 31, v8
	s_cselect_b64 s[0:1], -1, 0
	s_waitcnt lgkmcnt(0)
	v_mul_lo_u32 v10, s22, v9
	v_mul_lo_u32 v11, s23, v8
	v_mad_u64_u32 v[4:5], s[4:5], s22, v8, 0
	s_xor_b64 s[28:29], s[0:1], -1
	v_cmp_gt_i32_e64 s[0:1], s27, v8
	v_lshlrev_b64 v[6:7], 2, v[8:9]
	v_add3_u32 v5, v5, v10, v11
	v_mul_lo_u32 v10, s14, v9
	v_mul_lo_u32 v11, s15, v8
	v_mad_u64_u32 v[8:9], s[4:5], s14, v8, 0
	s_cmp_lt_i32 s7, s11
	s_mul_i32 s4, s7, s33
	s_mul_i32 s42, s33, s2
	s_cselect_b64 s[2:3], -1, 0
	s_cmp_lg_u32 s25, 0
	v_add3_u32 v9, v9, v10, v11
	v_add_u32_e32 v10, s4, v1
	v_lshlrev_b32_e32 v16, 2, v1
	v_lshl_add_u64 v[2:3], s[20:21], 0, v[6:7]
	v_lshl_add_u64 v[4:5], v[4:5], 2, s[20:21]
	s_cselect_b64 s[20:21], -1, 0
	s_and_b64 s[24:25], s[30:31], s[0:1]
	v_mad_u64_u32 v[10:11], s[4:5], s33, v10, v[0:1]
	v_or_b32_e32 v12, 0x1000, v16
	v_lshlrev_b32_e32 v17, 7, v0
	s_cmp_lg_u32 s8, 1
	v_cndmask_b32_e64 v11, 0, 1, s[2:3]
	s_mov_b32 s43, 0
	v_cmp_neq_f32_e64 s[26:27], s10, 0
	s_cselect_b64 s[30:31], -1, 0
	v_lshl_add_u64 v[6:7], s[12:13], 0, v[6:7]
	v_lshl_add_u64 v[8:9], v[8:9], 2, s[12:13]
	s_lshl_b32 s8, s33, 5
	s_mul_i32 s44, s33, s33
	v_cmp_ne_u32_e64 s[2:3], 1, v11
	v_add_u32_e32 v11, v12, v17
	v_add_u32_e32 v18, v16, v17
	;; [unrolled: 1-line block ×5, first 2 shown]
	s_branch .LBB0_12
.LBB0_11:                               ;   in Loop: Header=BB0_12 Depth=1
	s_or_b64 exec, exec, s[4:5]
	s_add_i32 s43, s43, 32
	s_cmp_lt_i32 s43, s33
	v_add_u32_e32 v10, s8, v10
	s_cbranch_scc0 .LBB0_55
.LBB0_12:                               ; =>This Loop Header: Depth=1
                                        ;     Child Loop BB0_15 Depth 2
                                        ;       Child Loop BB0_17 Depth 3
	v_add_u32_e32 v12, s43, v1
	v_mov_b32_e32 v22, 0
	s_and_b64 vcc, exec, s[2:3]
	v_cmp_gt_i32_e64 s[4:5], s33, v12
	s_cbranch_vccnz .LBB0_43
; %bb.13:                               ;   in Loop: Header=BB0_12 Depth=1
	v_mov_b32_e32 v22, 0
	v_mov_b32_e32 v13, v10
	s_mov_b32 s12, s7
	s_branch .LBB0_15
.LBB0_14:                               ;   in Loop: Header=BB0_15 Depth=2
	s_add_i32 s12, s12, 1
	s_cmp_ge_i32 s12, s11
	v_add_u32_e32 v13, s44, v13
	s_cbranch_scc1 .LBB0_43
.LBB0_15:                               ;   Parent Loop BB0_12 Depth=1
                                        ; =>  This Loop Header: Depth=2
                                        ;       Child Loop BB0_17 Depth 3
	s_ashr_i32 s13, s12, 31
	s_lshl_b64 s[34:35], s[12:13], 2
	s_add_u32 s34, s16, s34
	s_addc_u32 s35, s17, s35
	s_load_dword s34, s[34:35], 0x0
	s_mul_i32 s13, s12, s33
	s_mov_b32 s45, 0
	s_waitcnt lgkmcnt(0)
	s_sub_i32 s34, s34, s9
	s_mul_i32 s34, s34, s33
	v_add_u32_e32 v23, s34, v1
	s_branch .LBB0_17
.LBB0_16:                               ;   in Loop: Header=BB0_17 Depth=3
	s_or_b64 exec, exec, s[36:37]
	s_waitcnt vmcnt(0)
	ds_write_b32 v18, v15
	s_waitcnt lgkmcnt(0)
	s_barrier
	ds_read2_b32 v[14:15], v16 offset1:32
	ds_read_b128 v[24:27], v17 offset:4096
	ds_read_b128 v[28:31], v17 offset:4112
	ds_read2_b32 v[40:41], v16 offset0:64 offset1:96
	ds_read_b128 v[32:35], v17 offset:4128
	ds_read_b128 v[36:39], v17 offset:4144
	ds_read2_b32 v[42:43], v16 offset0:128 offset1:160
	s_waitcnt lgkmcnt(5)
	v_fmac_f32_e32 v22, v14, v24
	v_fmac_f32_e32 v22, v15, v25
	ds_read2_b32 v[14:15], v16 offset0:192 offset1:224
	s_waitcnt lgkmcnt(4)
	v_fmac_f32_e32 v22, v40, v26
	v_fmac_f32_e32 v22, v41, v27
	ds_read2_b32 v[24:25], v19 offset1:32
	s_waitcnt lgkmcnt(2)
	v_fmac_f32_e32 v22, v42, v28
	v_fmac_f32_e32 v22, v43, v29
	ds_read2_b32 v[26:27], v19 offset0:64 offset1:96
	s_waitcnt lgkmcnt(2)
	v_fmac_f32_e32 v22, v14, v30
	v_fmac_f32_e32 v22, v15, v31
	ds_read2_b32 v[14:15], v19 offset0:128 offset1:160
	s_waitcnt lgkmcnt(2)
	v_fmac_f32_e32 v22, v24, v32
	v_fmac_f32_e32 v22, v25, v33
	s_waitcnt lgkmcnt(1)
	v_fmac_f32_e32 v22, v26, v34
	ds_read2_b32 v[28:29], v19 offset0:192 offset1:224
	v_fmac_f32_e32 v22, v27, v35
	s_waitcnt lgkmcnt(1)
	v_fmac_f32_e32 v22, v14, v36
	v_fmac_f32_e32 v22, v15, v37
	ds_read2_b32 v[14:15], v20 offset1:32
	ds_read_b128 v[24:27], v17 offset:4160
	s_waitcnt lgkmcnt(2)
	v_fmac_f32_e32 v22, v28, v38
	v_fmac_f32_e32 v22, v29, v39
	ds_read2_b32 v[32:33], v20 offset0:64 offset1:96
	ds_read_b128 v[28:31], v17 offset:4176
	ds_read2_b32 v[34:35], v20 offset0:128 offset1:160
	s_waitcnt lgkmcnt(3)
	v_fmac_f32_e32 v22, v14, v24
	v_fmac_f32_e32 v22, v15, v25
	ds_read2_b32 v[14:15], v20 offset0:192 offset1:224
	s_waitcnt lgkmcnt(3)
	v_fmac_f32_e32 v22, v32, v26
	v_fmac_f32_e32 v22, v33, v27
	s_waitcnt lgkmcnt(1)
	v_fmac_f32_e32 v22, v34, v28
	ds_read2_b32 v[32:33], v21 offset1:32
	ds_read_b128 v[24:27], v17 offset:4192
	v_fmac_f32_e32 v22, v35, v29
	s_waitcnt lgkmcnt(2)
	v_fmac_f32_e32 v22, v14, v30
	v_fmac_f32_e32 v22, v15, v31
	ds_read2_b32 v[14:15], v21 offset0:64 offset1:96
	ds_read_b128 v[28:31], v17 offset:4208
	ds_read2_b32 v[34:35], v21 offset0:128 offset1:160
	s_waitcnt lgkmcnt(3)
	v_fmac_f32_e32 v22, v32, v24
	v_fmac_f32_e32 v22, v33, v25
	ds_read2_b32 v[24:25], v21 offset0:192 offset1:224
	s_waitcnt lgkmcnt(3)
	v_fmac_f32_e32 v22, v14, v26
	v_fmac_f32_e32 v22, v15, v27
	s_waitcnt lgkmcnt(1)
	v_fmac_f32_e32 v22, v34, v28
	v_fmac_f32_e32 v22, v35, v29
	s_waitcnt lgkmcnt(0)
	v_fmac_f32_e32 v22, v24, v30
	s_add_i32 s45, s45, 32
	v_fmac_f32_e32 v22, v25, v31
	s_cmp_ge_i32 s45, s33
	s_barrier
	s_cbranch_scc1 .LBB0_14
.LBB0_17:                               ;   Parent Loop BB0_12 Depth=1
                                        ;     Parent Loop BB0_15 Depth=2
                                        ; =>    This Inner Loop Header: Depth=3
	s_mov_b64 s[34:35], -1
	s_and_b64 vcc, exec, s[28:29]
                                        ; implicit-def: $vgpr14
	s_cbranch_vccnz .LBB0_26
; %bb.18:                               ;   in Loop: Header=BB0_17 Depth=3
	s_andn2_b64 vcc, exec, s[34:35]
	s_cbranch_vccz .LBB0_31
.LBB0_19:                               ;   in Loop: Header=BB0_17 Depth=3
	s_and_b64 vcc, exec, s[20:21]
	s_waitcnt vmcnt(0)
	ds_write_b32 v11, v14
	s_cbranch_vccz .LBB0_36
.LBB0_20:                               ;   in Loop: Header=BB0_17 Depth=3
	s_mov_b64 s[36:37], 0
	s_mov_b64 s[34:35], 0
                                        ; implicit-def: $vgpr14
	s_and_saveexec_b64 s[38:39], s[4:5]
	s_cbranch_execz .LBB0_24
; %bb.21:                               ;   in Loop: Header=BB0_17 Depth=3
	v_add_u32_e32 v15, s45, v0
	v_cmp_gt_i32_e32 vcc, s33, v15
                                        ; implicit-def: $vgpr14
	s_and_saveexec_b64 s[40:41], vcc
	s_xor_b64 s[40:41], exec, s[40:41]
; %bb.22:                               ;   in Loop: Header=BB0_17 Depth=3
	v_add_u32_e32 v14, s13, v15
	s_mov_b64 s[34:35], exec
	v_mad_u64_u32 v[14:15], s[46:47], v14, s33, v[12:13]
; %bb.23:                               ;   in Loop: Header=BB0_17 Depth=3
	s_or_b64 exec, exec, s[40:41]
	s_and_b64 s[34:35], s[34:35], exec
.LBB0_24:                               ;   in Loop: Header=BB0_17 Depth=3
	s_or_b64 exec, exec, s[38:39]
	s_and_b64 vcc, exec, s[36:37]
	s_cbranch_vccnz .LBB0_37
.LBB0_25:                               ;   in Loop: Header=BB0_17 Depth=3
	v_mov_b32_e32 v15, 0
	s_and_saveexec_b64 s[36:37], s[34:35]
	s_cbranch_execz .LBB0_16
	s_branch .LBB0_42
.LBB0_26:                               ;   in Loop: Header=BB0_17 Depth=3
	v_mov_b32_e32 v14, 0
	s_and_saveexec_b64 s[34:35], s[0:1]
	s_cbranch_execz .LBB0_30
; %bb.27:                               ;   in Loop: Header=BB0_17 Depth=3
	v_add_u32_e32 v14, s45, v1
	v_cmp_gt_i32_e32 vcc, s33, v14
	v_mov_b32_e32 v14, 0
	s_and_saveexec_b64 s[36:37], vcc
	s_cbranch_execz .LBB0_29
; %bb.28:                               ;   in Loop: Header=BB0_17 Depth=3
	v_add_u32_e32 v14, s45, v23
	v_ashrrev_i32_e32 v15, 31, v14
	v_mul_lo_u32 v24, s22, v15
	v_mul_lo_u32 v25, s23, v14
	v_mad_u64_u32 v[14:15], s[38:39], s22, v14, 0
	v_add3_u32 v15, v15, v24, v25
	v_lshl_add_u64 v[14:15], v[14:15], 2, v[2:3]
	global_load_dword v14, v[14:15], off
.LBB0_29:                               ;   in Loop: Header=BB0_17 Depth=3
	s_or_b64 exec, exec, s[36:37]
.LBB0_30:                               ;   in Loop: Header=BB0_17 Depth=3
	s_or_b64 exec, exec, s[34:35]
	s_cbranch_execnz .LBB0_19
.LBB0_31:                               ;   in Loop: Header=BB0_17 Depth=3
	s_waitcnt vmcnt(0)
	v_mov_b32_e32 v14, 0
	s_and_saveexec_b64 s[34:35], s[0:1]
	s_cbranch_execz .LBB0_35
; %bb.32:                               ;   in Loop: Header=BB0_17 Depth=3
	v_add_u32_e32 v14, s45, v1
	v_cmp_gt_i32_e32 vcc, s33, v14
	v_mov_b32_e32 v14, 0
	s_and_saveexec_b64 s[36:37], vcc
	s_cbranch_execz .LBB0_34
; %bb.33:                               ;   in Loop: Header=BB0_17 Depth=3
	v_add_u32_e32 v14, s45, v23
	v_ashrrev_i32_e32 v15, 31, v14
	v_lshl_add_u64 v[14:15], v[14:15], 2, v[4:5]
	global_load_dword v14, v[14:15], off
.LBB0_34:                               ;   in Loop: Header=BB0_17 Depth=3
	s_or_b64 exec, exec, s[36:37]
.LBB0_35:                               ;   in Loop: Header=BB0_17 Depth=3
	s_or_b64 exec, exec, s[34:35]
	s_and_b64 vcc, exec, s[20:21]
	s_waitcnt vmcnt(0)
	ds_write_b32 v11, v14
	s_cbranch_vccnz .LBB0_20
.LBB0_36:                               ;   in Loop: Header=BB0_17 Depth=3
	s_mov_b64 s[34:35], 0
                                        ; implicit-def: $vgpr14
	s_cbranch_execz .LBB0_25
.LBB0_37:                               ;   in Loop: Header=BB0_17 Depth=3
                                        ; implicit-def: $vgpr14
	s_and_saveexec_b64 s[36:37], s[4:5]
	s_cbranch_execz .LBB0_41
; %bb.38:                               ;   in Loop: Header=BB0_17 Depth=3
	v_add_u32_e32 v14, s45, v0
	v_cmp_gt_i32_e32 vcc, s33, v14
	s_mov_b64 s[38:39], s[34:35]
                                        ; implicit-def: $vgpr14
	s_and_saveexec_b64 s[40:41], vcc
; %bb.39:                               ;   in Loop: Header=BB0_17 Depth=3
	v_add_u32_e32 v14, s45, v13
	s_or_b64 s[38:39], s[34:35], exec
; %bb.40:                               ;   in Loop: Header=BB0_17 Depth=3
	s_or_b64 exec, exec, s[40:41]
	s_andn2_b64 s[34:35], s[34:35], exec
	s_and_b64 s[38:39], s[38:39], exec
	s_or_b64 s[34:35], s[34:35], s[38:39]
.LBB0_41:                               ;   in Loop: Header=BB0_17 Depth=3
	s_or_b64 exec, exec, s[36:37]
	v_mov_b32_e32 v15, 0
	s_and_saveexec_b64 s[36:37], s[34:35]
	s_cbranch_execz .LBB0_16
.LBB0_42:                               ;   in Loop: Header=BB0_17 Depth=3
	v_ashrrev_i32_e32 v15, 31, v14
	v_lshl_add_u64 v[14:15], v[14:15], 2, s[18:19]
	global_load_dword v15, v[14:15], off
	s_branch .LBB0_16
.LBB0_43:                               ;   in Loop: Header=BB0_12 Depth=1
	v_cmp_gt_i32_e32 vcc, s33, v12
	s_and_b64 s[12:13], s[24:25], vcc
	s_and_saveexec_b64 s[4:5], s[12:13]
	s_cbranch_execz .LBB0_11
; %bb.44:                               ;   in Loop: Header=BB0_12 Depth=1
	v_add_u32_e32 v12, s42, v12
	s_and_b64 vcc, exec, s[26:27]
	v_ashrrev_i32_e32 v13, 31, v12
	s_mov_b64 s[12:13], -1
	s_cbranch_vccz .LBB0_50
; %bb.45:                               ;   in Loop: Header=BB0_12 Depth=1
	s_and_b64 vcc, exec, s[30:31]
	s_cbranch_vccz .LBB0_47
; %bb.46:                               ;   in Loop: Header=BB0_12 Depth=1
	v_mul_lo_u32 v23, s15, v12
	v_mul_lo_u32 v24, s14, v13
	v_mad_u64_u32 v[14:15], s[12:13], s14, v12, 0
	v_add3_u32 v15, v15, v24, v23
	v_lshl_add_u64 v[14:15], v[14:15], 2, v[6:7]
	global_load_dword v23, v[14:15], off
	v_mul_f32_e32 v24, s6, v22
	s_mov_b64 s[12:13], 0
	s_waitcnt vmcnt(0)
	v_fmac_f32_e32 v24, s10, v23
	global_store_dword v[14:15], v24, off
.LBB0_47:                               ;   in Loop: Header=BB0_12 Depth=1
	s_andn2_b64 vcc, exec, s[12:13]
	s_cbranch_vccnz .LBB0_49
; %bb.48:                               ;   in Loop: Header=BB0_12 Depth=1
	v_lshl_add_u64 v[14:15], v[12:13], 2, v[8:9]
	global_load_dword v23, v[14:15], off
	v_mul_f32_e32 v24, s6, v22
	s_waitcnt vmcnt(0)
	v_fmac_f32_e32 v24, s10, v23
	global_store_dword v[14:15], v24, off
.LBB0_49:                               ;   in Loop: Header=BB0_12 Depth=1
	s_mov_b64 s[12:13], 0
.LBB0_50:                               ;   in Loop: Header=BB0_12 Depth=1
	s_andn2_b64 vcc, exec, s[12:13]
	s_cbranch_vccnz .LBB0_11
; %bb.51:                               ;   in Loop: Header=BB0_12 Depth=1
	v_mul_f32_e32 v14, s6, v22
	s_mov_b64 s[12:13], -1
	s_and_b64 vcc, exec, s[30:31]
	s_cbranch_vccz .LBB0_53
; %bb.52:                               ;   in Loop: Header=BB0_12 Depth=1
	v_mul_lo_u32 v15, s15, v12
	v_mul_lo_u32 v24, s14, v13
	v_mad_u64_u32 v[22:23], s[12:13], s14, v12, 0
	v_add3_u32 v23, v23, v24, v15
	v_lshl_add_u64 v[22:23], v[22:23], 2, v[6:7]
	global_store_dword v[22:23], v14, off
	s_mov_b64 s[12:13], 0
.LBB0_53:                               ;   in Loop: Header=BB0_12 Depth=1
	s_andn2_b64 vcc, exec, s[12:13]
	s_cbranch_vccnz .LBB0_11
; %bb.54:                               ;   in Loop: Header=BB0_12 Depth=1
	v_lshl_add_u64 v[12:13], v[12:13], 2, v[8:9]
	global_store_dword v[12:13], v14, off
	s_branch .LBB0_11
.LBB0_55:
	s_endpgm
	.section	.rodata,"a",@progbits
	.p2align	6, 0x0
	.amdhsa_kernel _ZN9rocsparseL29bsrmm_general_blockdim_kernelILj32ELj32EiiffffEEvb20rocsparse_direction_T2_S2_llNS_24const_host_device_scalarIT6_EEPKT1_PKS2_PKT3_S2_PKT4_llS5_PT5_ll16rocsparse_order_21rocsparse_index_base_b
		.amdhsa_group_segment_fixed_size 8192
		.amdhsa_private_segment_fixed_size 0
		.amdhsa_kernarg_size 140
		.amdhsa_user_sgpr_count 2
		.amdhsa_user_sgpr_dispatch_ptr 0
		.amdhsa_user_sgpr_queue_ptr 0
		.amdhsa_user_sgpr_kernarg_segment_ptr 1
		.amdhsa_user_sgpr_dispatch_id 0
		.amdhsa_user_sgpr_kernarg_preload_length 0
		.amdhsa_user_sgpr_kernarg_preload_offset 0
		.amdhsa_user_sgpr_private_segment_size 0
		.amdhsa_uses_dynamic_stack 0
		.amdhsa_enable_private_segment 0
		.amdhsa_system_sgpr_workgroup_id_x 1
		.amdhsa_system_sgpr_workgroup_id_y 1
		.amdhsa_system_sgpr_workgroup_id_z 0
		.amdhsa_system_sgpr_workgroup_info 0
		.amdhsa_system_vgpr_workitem_id 1
		.amdhsa_next_free_vgpr 44
		.amdhsa_next_free_sgpr 48
		.amdhsa_accum_offset 44
		.amdhsa_reserve_vcc 1
		.amdhsa_float_round_mode_32 0
		.amdhsa_float_round_mode_16_64 0
		.amdhsa_float_denorm_mode_32 3
		.amdhsa_float_denorm_mode_16_64 3
		.amdhsa_dx10_clamp 1
		.amdhsa_ieee_mode 1
		.amdhsa_fp16_overflow 0
		.amdhsa_tg_split 0
		.amdhsa_exception_fp_ieee_invalid_op 0
		.amdhsa_exception_fp_denorm_src 0
		.amdhsa_exception_fp_ieee_div_zero 0
		.amdhsa_exception_fp_ieee_overflow 0
		.amdhsa_exception_fp_ieee_underflow 0
		.amdhsa_exception_fp_ieee_inexact 0
		.amdhsa_exception_int_div_zero 0
	.end_amdhsa_kernel
	.section	.text._ZN9rocsparseL29bsrmm_general_blockdim_kernelILj32ELj32EiiffffEEvb20rocsparse_direction_T2_S2_llNS_24const_host_device_scalarIT6_EEPKT1_PKS2_PKT3_S2_PKT4_llS5_PT5_ll16rocsparse_order_21rocsparse_index_base_b,"axG",@progbits,_ZN9rocsparseL29bsrmm_general_blockdim_kernelILj32ELj32EiiffffEEvb20rocsparse_direction_T2_S2_llNS_24const_host_device_scalarIT6_EEPKT1_PKS2_PKT3_S2_PKT4_llS5_PT5_ll16rocsparse_order_21rocsparse_index_base_b,comdat
.Lfunc_end0:
	.size	_ZN9rocsparseL29bsrmm_general_blockdim_kernelILj32ELj32EiiffffEEvb20rocsparse_direction_T2_S2_llNS_24const_host_device_scalarIT6_EEPKT1_PKS2_PKT3_S2_PKT4_llS5_PT5_ll16rocsparse_order_21rocsparse_index_base_b, .Lfunc_end0-_ZN9rocsparseL29bsrmm_general_blockdim_kernelILj32ELj32EiiffffEEvb20rocsparse_direction_T2_S2_llNS_24const_host_device_scalarIT6_EEPKT1_PKS2_PKT3_S2_PKT4_llS5_PT5_ll16rocsparse_order_21rocsparse_index_base_b
                                        ; -- End function
	.set _ZN9rocsparseL29bsrmm_general_blockdim_kernelILj32ELj32EiiffffEEvb20rocsparse_direction_T2_S2_llNS_24const_host_device_scalarIT6_EEPKT1_PKS2_PKT3_S2_PKT4_llS5_PT5_ll16rocsparse_order_21rocsparse_index_base_b.num_vgpr, 44
	.set _ZN9rocsparseL29bsrmm_general_blockdim_kernelILj32ELj32EiiffffEEvb20rocsparse_direction_T2_S2_llNS_24const_host_device_scalarIT6_EEPKT1_PKS2_PKT3_S2_PKT4_llS5_PT5_ll16rocsparse_order_21rocsparse_index_base_b.num_agpr, 0
	.set _ZN9rocsparseL29bsrmm_general_blockdim_kernelILj32ELj32EiiffffEEvb20rocsparse_direction_T2_S2_llNS_24const_host_device_scalarIT6_EEPKT1_PKS2_PKT3_S2_PKT4_llS5_PT5_ll16rocsparse_order_21rocsparse_index_base_b.numbered_sgpr, 48
	.set _ZN9rocsparseL29bsrmm_general_blockdim_kernelILj32ELj32EiiffffEEvb20rocsparse_direction_T2_S2_llNS_24const_host_device_scalarIT6_EEPKT1_PKS2_PKT3_S2_PKT4_llS5_PT5_ll16rocsparse_order_21rocsparse_index_base_b.num_named_barrier, 0
	.set _ZN9rocsparseL29bsrmm_general_blockdim_kernelILj32ELj32EiiffffEEvb20rocsparse_direction_T2_S2_llNS_24const_host_device_scalarIT6_EEPKT1_PKS2_PKT3_S2_PKT4_llS5_PT5_ll16rocsparse_order_21rocsparse_index_base_b.private_seg_size, 0
	.set _ZN9rocsparseL29bsrmm_general_blockdim_kernelILj32ELj32EiiffffEEvb20rocsparse_direction_T2_S2_llNS_24const_host_device_scalarIT6_EEPKT1_PKS2_PKT3_S2_PKT4_llS5_PT5_ll16rocsparse_order_21rocsparse_index_base_b.uses_vcc, 1
	.set _ZN9rocsparseL29bsrmm_general_blockdim_kernelILj32ELj32EiiffffEEvb20rocsparse_direction_T2_S2_llNS_24const_host_device_scalarIT6_EEPKT1_PKS2_PKT3_S2_PKT4_llS5_PT5_ll16rocsparse_order_21rocsparse_index_base_b.uses_flat_scratch, 0
	.set _ZN9rocsparseL29bsrmm_general_blockdim_kernelILj32ELj32EiiffffEEvb20rocsparse_direction_T2_S2_llNS_24const_host_device_scalarIT6_EEPKT1_PKS2_PKT3_S2_PKT4_llS5_PT5_ll16rocsparse_order_21rocsparse_index_base_b.has_dyn_sized_stack, 0
	.set _ZN9rocsparseL29bsrmm_general_blockdim_kernelILj32ELj32EiiffffEEvb20rocsparse_direction_T2_S2_llNS_24const_host_device_scalarIT6_EEPKT1_PKS2_PKT3_S2_PKT4_llS5_PT5_ll16rocsparse_order_21rocsparse_index_base_b.has_recursion, 0
	.set _ZN9rocsparseL29bsrmm_general_blockdim_kernelILj32ELj32EiiffffEEvb20rocsparse_direction_T2_S2_llNS_24const_host_device_scalarIT6_EEPKT1_PKS2_PKT3_S2_PKT4_llS5_PT5_ll16rocsparse_order_21rocsparse_index_base_b.has_indirect_call, 0
	.section	.AMDGPU.csdata,"",@progbits
; Kernel info:
; codeLenInByte = 1836
; TotalNumSgprs: 54
; NumVgprs: 44
; NumAgprs: 0
; TotalNumVgprs: 44
; ScratchSize: 0
; MemoryBound: 0
; FloatMode: 240
; IeeeMode: 1
; LDSByteSize: 8192 bytes/workgroup (compile time only)
; SGPRBlocks: 6
; VGPRBlocks: 5
; NumSGPRsForWavesPerEU: 54
; NumVGPRsForWavesPerEU: 44
; AccumOffset: 44
; Occupancy: 8
; WaveLimiterHint : 1
; COMPUTE_PGM_RSRC2:SCRATCH_EN: 0
; COMPUTE_PGM_RSRC2:USER_SGPR: 2
; COMPUTE_PGM_RSRC2:TRAP_HANDLER: 0
; COMPUTE_PGM_RSRC2:TGID_X_EN: 1
; COMPUTE_PGM_RSRC2:TGID_Y_EN: 1
; COMPUTE_PGM_RSRC2:TGID_Z_EN: 0
; COMPUTE_PGM_RSRC2:TIDIG_COMP_CNT: 1
; COMPUTE_PGM_RSRC3_GFX90A:ACCUM_OFFSET: 10
; COMPUTE_PGM_RSRC3_GFX90A:TG_SPLIT: 0
	.section	.text._ZN9rocsparseL29bsrmm_general_blockdim_kernelILj32ELj32EliffffEEvb20rocsparse_direction_T2_S2_llNS_24const_host_device_scalarIT6_EEPKT1_PKS2_PKT3_S2_PKT4_llS5_PT5_ll16rocsparse_order_21rocsparse_index_base_b,"axG",@progbits,_ZN9rocsparseL29bsrmm_general_blockdim_kernelILj32ELj32EliffffEEvb20rocsparse_direction_T2_S2_llNS_24const_host_device_scalarIT6_EEPKT1_PKS2_PKT3_S2_PKT4_llS5_PT5_ll16rocsparse_order_21rocsparse_index_base_b,comdat
	.globl	_ZN9rocsparseL29bsrmm_general_blockdim_kernelILj32ELj32EliffffEEvb20rocsparse_direction_T2_S2_llNS_24const_host_device_scalarIT6_EEPKT1_PKS2_PKT3_S2_PKT4_llS5_PT5_ll16rocsparse_order_21rocsparse_index_base_b ; -- Begin function _ZN9rocsparseL29bsrmm_general_blockdim_kernelILj32ELj32EliffffEEvb20rocsparse_direction_T2_S2_llNS_24const_host_device_scalarIT6_EEPKT1_PKS2_PKT3_S2_PKT4_llS5_PT5_ll16rocsparse_order_21rocsparse_index_base_b
	.p2align	8
	.type	_ZN9rocsparseL29bsrmm_general_blockdim_kernelILj32ELj32EliffffEEvb20rocsparse_direction_T2_S2_llNS_24const_host_device_scalarIT6_EEPKT1_PKS2_PKT3_S2_PKT4_llS5_PT5_ll16rocsparse_order_21rocsparse_index_base_b,@function
_ZN9rocsparseL29bsrmm_general_blockdim_kernelILj32ELj32EliffffEEvb20rocsparse_direction_T2_S2_llNS_24const_host_device_scalarIT6_EEPKT1_PKS2_PKT3_S2_PKT4_llS5_PT5_ll16rocsparse_order_21rocsparse_index_base_b: ; @_ZN9rocsparseL29bsrmm_general_blockdim_kernelILj32ELj32EliffffEEvb20rocsparse_direction_T2_S2_llNS_24const_host_device_scalarIT6_EEPKT1_PKS2_PKT3_S2_PKT4_llS5_PT5_ll16rocsparse_order_21rocsparse_index_base_b
; %bb.0:
	s_load_dwordx4 s[8:11], s[0:1], 0x80
	s_mov_b32 s4, s3
	s_waitcnt lgkmcnt(0)
	s_bitcmp1_b32 s10, 0
	s_load_dwordx2 s[6:7], s[0:1], 0x20
	s_load_dwordx2 s[10:11], s[0:1], 0x60
	s_cselect_b64 s[14:15], -1, 0
	s_xor_b64 s[12:13], s[14:15], -1
	s_and_b64 vcc, exec, s[14:15]
	s_cbranch_vccnz .LBB1_2
; %bb.1:
	s_waitcnt lgkmcnt(0)
	s_load_dword s6, s[6:7], 0x0
.LBB1_2:
	s_andn2_b64 vcc, exec, s[12:13]
	s_cbranch_vccnz .LBB1_4
; %bb.3:
	s_waitcnt lgkmcnt(0)
	s_load_dword s10, s[10:11], 0x0
.LBB1_4:
	s_waitcnt lgkmcnt(0)
	v_cmp_eq_f32_e64 s[12:13], s6, 0
	v_cmp_eq_f32_e64 s[14:15], s10, 1.0
	s_and_b64 s[12:13], s[12:13], s[14:15]
	s_and_b64 vcc, exec, s[12:13]
	s_cbranch_vccnz .LBB1_51
; %bb.5:
	s_load_dwordx4 s[24:27], s[0:1], 0x0
	s_load_dwordx2 s[12:13], s[0:1], 0x28
	s_mov_b64 s[36:37], 0
	s_mov_b64 s[28:29], 0
	s_waitcnt lgkmcnt(0)
	s_cmp_lt_i32 s2, s26
	s_cselect_b64 s[34:35], -1, 0
	s_cmp_ge_i32 s2, s26
	s_cbranch_scc0 .LBB1_8
; %bb.6:
	s_andn2_b64 vcc, exec, s[34:35]
	s_cbranch_vccz .LBB1_9
.LBB1_7:
	s_load_dword s7, s[0:1], 0x40
	s_waitcnt lgkmcnt(0)
	s_cmp_lt_i32 s7, 1
	s_cbranch_scc0 .LBB1_10
	s_branch .LBB1_51
.LBB1_8:
	s_ashr_i32 s3, s2, 31
	s_lshl_b64 s[14:15], s[2:3], 3
	s_add_u32 s14, s12, s14
	s_addc_u32 s15, s13, s15
	s_load_dwordx2 s[14:15], s[14:15], 0x0
	s_waitcnt lgkmcnt(0)
	s_sub_u32 s28, s14, s9
	s_subb_u32 s29, s15, 0
	s_andn2_b64 vcc, exec, s[34:35]
	s_cbranch_vccnz .LBB1_7
.LBB1_9:
	s_ashr_i32 s3, s2, 31
	s_lshl_b64 s[14:15], s[2:3], 3
	s_add_u32 s12, s12, s14
	s_addc_u32 s13, s13, s15
	s_load_dwordx2 s[12:13], s[12:13], 0x8
	s_waitcnt lgkmcnt(0)
	s_sub_u32 s36, s12, s9
	s_subb_u32 s37, s13, 0
	s_load_dword s7, s[0:1], 0x40
	s_waitcnt lgkmcnt(0)
	s_cmp_lt_i32 s7, 1
	s_cbranch_scc1 .LBB1_51
.LBB1_10:
	s_load_dwordx4 s[12:15], s[0:1], 0x68
	s_load_dwordx4 s[16:19], s[0:1], 0x30
	;; [unrolled: 1-line block ×3, first 2 shown]
	v_bfe_u32 v15, v0, 10, 10
	s_bitcmp1_b32 s24, 0
	v_lshl_add_u32 v8, s4, 5, v15
	s_cselect_b64 s[0:1], -1, 0
	v_ashrrev_i32_e32 v9, 31, v8
	s_xor_b64 s[30:31], s[0:1], -1
	s_mul_i32 s11, s7, s2
	s_waitcnt lgkmcnt(0)
	v_mul_lo_u32 v11, s22, v9
	v_mul_lo_u32 v12, s23, v8
	v_mad_u64_u32 v[4:5], s[2:3], s22, v8, 0
	v_and_b32_e32 v14, 0x3ff, v0
	v_mov_b64_e32 v[0:1], s[36:37]
	v_cmp_gt_i32_e64 s[0:1], s27, v8
	v_lshlrev_b64 v[6:7], 2, v[8:9]
	v_add3_u32 v5, v5, v11, v12
	s_cmp_lg_u32 s25, 0
	v_lshlrev_b32_e32 v16, 2, v14
	v_lshl_add_u64 v[2:3], s[20:21], 0, v[6:7]
	v_lshl_add_u64 v[4:5], v[4:5], 2, s[20:21]
	s_cselect_b64 s[20:21], -1, 0
	s_and_b64 s[24:25], s[34:35], s[0:1]
	v_mul_lo_u32 v11, s14, v9
	v_mul_lo_u32 v12, s15, v8
	v_mad_u64_u32 v[8:9], s[2:3], s14, v8, 0
	v_cmp_lt_i64_e32 vcc, s[28:29], v[0:1]
	v_or_b32_e32 v10, 0x1000, v16
	v_lshlrev_b32_e32 v17, 7, v15
	s_cmp_lg_u32 s8, 1
	v_add3_u32 v9, v9, v11, v12
	v_cndmask_b32_e64 v11, 0, 1, vcc
	s_mov_b32 s33, 0
	s_mul_i32 s46, s7, s7
	v_cmp_neq_f32_e64 s[26:27], s10, 0
	s_cselect_b64 s[34:35], -1, 0
	v_lshl_add_u64 v[6:7], s[12:13], 0, v[6:7]
	v_lshl_add_u64 v[8:9], v[8:9], 2, s[12:13]
	v_cmp_ne_u32_e64 s[2:3], 1, v11
	v_add_u32_e32 v18, v10, v17
	v_add_u32_e32 v19, v16, v17
	;; [unrolled: 1-line block ×5, first 2 shown]
	s_branch .LBB1_12
.LBB1_11:                               ;   in Loop: Header=BB1_12 Depth=1
	s_or_b64 exec, exec, s[4:5]
	s_add_i32 s33, s33, 32
	s_cmp_lt_i32 s33, s7
	s_cbranch_scc0 .LBB1_51
.LBB1_12:                               ; =>This Loop Header: Depth=1
                                        ;     Child Loop BB1_15 Depth 2
                                        ;       Child Loop BB1_17 Depth 3
	v_add_u32_e32 v24, s33, v14
	v_mov_b32_e32 v23, 0
	s_and_b64 vcc, exec, s[2:3]
	v_cmp_gt_i32_e64 s[4:5], s7, v24
	s_cbranch_vccnz .LBB1_39
; %bb.13:                               ;   in Loop: Header=BB1_12 Depth=1
	v_mul_lo_u32 v25, v24, s7
	v_mov_b32_e32 v23, 0
	s_mov_b64 s[12:13], s[28:29]
	s_branch .LBB1_15
.LBB1_14:                               ;   in Loop: Header=BB1_15 Depth=2
	s_add_u32 s12, s12, 1
	s_addc_u32 s13, s13, 0
	v_cmp_ge_i64_e32 vcc, s[12:13], v[0:1]
	s_cbranch_vccnz .LBB1_39
.LBB1_15:                               ;   Parent Loop BB1_12 Depth=1
                                        ; =>  This Loop Header: Depth=2
                                        ;       Child Loop BB1_17 Depth 3
	s_lshl_b64 s[36:37], s[12:13], 2
	s_add_u32 s36, s16, s36
	s_addc_u32 s37, s17, s37
	s_load_dword s8, s[36:37], 0x0
	s_mul_i32 s37, s13, s46
	s_mul_hi_u32 s38, s12, s46
	s_mul_i32 s36, s12, s46
	s_add_i32 s37, s38, s37
	s_waitcnt lgkmcnt(0)
	s_sub_i32 s8, s8, s9
	s_lshl_b64 s[36:37], s[36:37], 2
	s_mul_i32 s8, s8, s7
	s_add_u32 s36, s18, s36
	s_addc_u32 s37, s19, s37
	v_add_u32_e32 v26, s8, v14
	s_mov_b32 s8, 0
	s_branch .LBB1_17
.LBB1_16:                               ;   in Loop: Header=BB1_17 Depth=3
	s_or_b64 exec, exec, s[38:39]
	s_waitcnt vmcnt(0)
	ds_write_b32 v19, v11
	s_waitcnt lgkmcnt(0)
	s_barrier
	ds_read2_b32 v[40:41], v16 offset1:32
	ds_read_b128 v[10:13], v17 offset:4096
	ds_read_b128 v[28:31], v17 offset:4112
	ds_read2_b32 v[42:43], v16 offset0:64 offset1:96
	ds_read_b128 v[32:35], v17 offset:4128
	ds_read_b128 v[36:39], v17 offset:4144
	ds_read2_b32 v[44:45], v16 offset0:128 offset1:160
	s_waitcnt lgkmcnt(5)
	v_fmac_f32_e32 v23, v40, v10
	v_fmac_f32_e32 v23, v41, v11
	ds_read2_b32 v[10:11], v16 offset0:192 offset1:224
	s_waitcnt lgkmcnt(4)
	v_fmac_f32_e32 v23, v42, v12
	v_fmac_f32_e32 v23, v43, v13
	ds_read2_b32 v[12:13], v20 offset1:32
	s_waitcnt lgkmcnt(2)
	v_fmac_f32_e32 v23, v44, v28
	v_fmac_f32_e32 v23, v45, v29
	ds_read2_b32 v[28:29], v20 offset0:64 offset1:96
	s_waitcnt lgkmcnt(2)
	v_fmac_f32_e32 v23, v10, v30
	v_fmac_f32_e32 v23, v11, v31
	s_waitcnt lgkmcnt(1)
	v_fmac_f32_e32 v23, v12, v32
	ds_read2_b32 v[10:11], v20 offset0:128 offset1:160
	v_fmac_f32_e32 v23, v13, v33
	s_waitcnt lgkmcnt(1)
	v_fmac_f32_e32 v23, v28, v34
	v_fmac_f32_e32 v23, v29, v35
	ds_read2_b32 v[28:29], v20 offset0:192 offset1:224
	s_waitcnt lgkmcnt(1)
	v_fmac_f32_e32 v23, v10, v36
	v_fmac_f32_e32 v23, v11, v37
	ds_read2_b32 v[32:33], v21 offset1:32
	ds_read_b128 v[10:13], v17 offset:4160
	s_add_i32 s8, s8, 32
	s_waitcnt lgkmcnt(2)
	v_fmac_f32_e32 v23, v28, v38
	v_fmac_f32_e32 v23, v29, v39
	ds_read2_b32 v[34:35], v21 offset0:64 offset1:96
	ds_read_b128 v[28:31], v17 offset:4176
	ds_read2_b32 v[36:37], v21 offset0:128 offset1:160
	s_waitcnt lgkmcnt(3)
	v_fmac_f32_e32 v23, v32, v10
	v_fmac_f32_e32 v23, v33, v11
	ds_read2_b32 v[32:33], v21 offset0:192 offset1:224
	s_waitcnt lgkmcnt(3)
	v_fmac_f32_e32 v23, v34, v12
	v_fmac_f32_e32 v23, v35, v13
	s_waitcnt lgkmcnt(1)
	v_fmac_f32_e32 v23, v36, v28
	ds_read2_b32 v[34:35], v22 offset1:32
	ds_read_b128 v[10:13], v17 offset:4192
	v_fmac_f32_e32 v23, v37, v29
	s_waitcnt lgkmcnt(2)
	v_fmac_f32_e32 v23, v32, v30
	v_fmac_f32_e32 v23, v33, v31
	ds_read2_b32 v[32:33], v22 offset0:64 offset1:96
	ds_read_b128 v[28:31], v17 offset:4208
	ds_read2_b32 v[36:37], v22 offset0:128 offset1:160
	s_waitcnt lgkmcnt(3)
	v_fmac_f32_e32 v23, v34, v10
	v_fmac_f32_e32 v23, v35, v11
	ds_read2_b32 v[10:11], v22 offset0:192 offset1:224
	s_waitcnt lgkmcnt(3)
	v_fmac_f32_e32 v23, v32, v12
	v_fmac_f32_e32 v23, v33, v13
	s_waitcnt lgkmcnt(1)
	v_fmac_f32_e32 v23, v36, v28
	v_fmac_f32_e32 v23, v37, v29
	;; [unrolled: 3-line block ×3, first 2 shown]
	s_cmp_ge_i32 s8, s7
	s_barrier
	s_cbranch_scc1 .LBB1_14
.LBB1_17:                               ;   Parent Loop BB1_12 Depth=1
                                        ;     Parent Loop BB1_15 Depth=2
                                        ; =>    This Inner Loop Header: Depth=3
	s_mov_b64 s[38:39], -1
	s_and_b64 vcc, exec, s[30:31]
                                        ; implicit-def: $vgpr10
	s_cbranch_vccnz .LBB1_26
; %bb.18:                               ;   in Loop: Header=BB1_17 Depth=3
	s_andn2_b64 vcc, exec, s[38:39]
	s_cbranch_vccz .LBB1_31
.LBB1_19:                               ;   in Loop: Header=BB1_17 Depth=3
	s_and_b64 vcc, exec, s[20:21]
	s_waitcnt vmcnt(0)
	ds_write_b32 v18, v10
	s_cbranch_vccz .LBB1_36
.LBB1_20:                               ;   in Loop: Header=BB1_17 Depth=3
	s_mov_b64 s[38:39], 0
	s_mov_b64 s[40:41], 0
                                        ; implicit-def: $vgpr10
	s_and_saveexec_b64 s[42:43], s[4:5]
	s_cbranch_execz .LBB1_24
; %bb.21:                               ;   in Loop: Header=BB1_17 Depth=3
	v_add_u32_e32 v11, s8, v15
	v_cmp_gt_i32_e32 vcc, s7, v11
                                        ; implicit-def: $vgpr10
	s_and_saveexec_b64 s[44:45], vcc
	s_xor_b64 s[44:45], exec, s[44:45]
; %bb.22:                               ;   in Loop: Header=BB1_17 Depth=3
	s_mov_b64 s[40:41], exec
	v_mul_lo_u32 v10, v11, s7
; %bb.23:                               ;   in Loop: Header=BB1_17 Depth=3
	s_or_b64 exec, exec, s[44:45]
	s_and_b64 s[40:41], s[40:41], exec
.LBB1_24:                               ;   in Loop: Header=BB1_17 Depth=3
	s_or_b64 exec, exec, s[42:43]
	s_and_b64 vcc, exec, s[38:39]
	s_cbranch_vccz .LBB1_37
.LBB1_25:                               ;   in Loop: Header=BB1_17 Depth=3
	v_add_u32_e32 v10, s8, v15
	v_cmp_gt_i32_e32 vcc, s7, v10
	s_and_b64 s[38:39], s[4:5], vcc
	s_andn2_b64 s[40:41], s[40:41], exec
	s_and_b64 s[38:39], s[38:39], exec
	s_or_b64 s[40:41], s[40:41], s[38:39]
	v_mov_b32_e32 v12, v25
	v_mov_b32_e32 v11, 0
	s_and_saveexec_b64 s[38:39], s[40:41]
	s_cbranch_execz .LBB1_16
	s_branch .LBB1_38
.LBB1_26:                               ;   in Loop: Header=BB1_17 Depth=3
	v_mov_b32_e32 v10, 0
	s_and_saveexec_b64 s[38:39], s[0:1]
	s_cbranch_execz .LBB1_30
; %bb.27:                               ;   in Loop: Header=BB1_17 Depth=3
	v_add_u32_e32 v10, s8, v14
	v_cmp_gt_i32_e32 vcc, s7, v10
	v_mov_b32_e32 v10, 0
	s_and_saveexec_b64 s[40:41], vcc
	s_cbranch_execz .LBB1_29
; %bb.28:                               ;   in Loop: Header=BB1_17 Depth=3
	v_add_u32_e32 v10, s8, v26
	v_ashrrev_i32_e32 v11, 31, v10
	v_mul_lo_u32 v12, s22, v11
	v_mul_lo_u32 v13, s23, v10
	v_mad_u64_u32 v[10:11], s[42:43], s22, v10, 0
	v_add3_u32 v11, v11, v12, v13
	v_lshl_add_u64 v[10:11], v[10:11], 2, v[2:3]
	global_load_dword v10, v[10:11], off
.LBB1_29:                               ;   in Loop: Header=BB1_17 Depth=3
	s_or_b64 exec, exec, s[40:41]
.LBB1_30:                               ;   in Loop: Header=BB1_17 Depth=3
	s_or_b64 exec, exec, s[38:39]
	s_cbranch_execnz .LBB1_19
.LBB1_31:                               ;   in Loop: Header=BB1_17 Depth=3
	s_waitcnt vmcnt(0)
	v_mov_b32_e32 v10, 0
	s_and_saveexec_b64 s[38:39], s[0:1]
	s_cbranch_execz .LBB1_35
; %bb.32:                               ;   in Loop: Header=BB1_17 Depth=3
	v_add_u32_e32 v10, s8, v14
	v_cmp_gt_i32_e32 vcc, s7, v10
	v_mov_b32_e32 v10, 0
	s_and_saveexec_b64 s[40:41], vcc
	s_cbranch_execz .LBB1_34
; %bb.33:                               ;   in Loop: Header=BB1_17 Depth=3
	v_add_u32_e32 v10, s8, v26
	v_ashrrev_i32_e32 v11, 31, v10
	v_lshl_add_u64 v[10:11], v[10:11], 2, v[4:5]
	global_load_dword v10, v[10:11], off
.LBB1_34:                               ;   in Loop: Header=BB1_17 Depth=3
	s_or_b64 exec, exec, s[40:41]
.LBB1_35:                               ;   in Loop: Header=BB1_17 Depth=3
	s_or_b64 exec, exec, s[38:39]
	s_and_b64 vcc, exec, s[20:21]
	s_waitcnt vmcnt(0)
	ds_write_b32 v18, v10
	s_cbranch_vccnz .LBB1_20
.LBB1_36:                               ;   in Loop: Header=BB1_17 Depth=3
	s_mov_b64 s[40:41], 0
                                        ; implicit-def: $vgpr10
	s_cbranch_execnz .LBB1_25
.LBB1_37:                               ;   in Loop: Header=BB1_17 Depth=3
	v_mov_b32_e32 v12, v24
	v_mov_b32_e32 v11, 0
	s_and_saveexec_b64 s[38:39], s[40:41]
	s_cbranch_execz .LBB1_16
.LBB1_38:                               ;   in Loop: Header=BB1_17 Depth=3
	v_ashrrev_i32_e32 v13, 31, v12
	v_lshl_add_u64 v[12:13], v[12:13], 2, s[36:37]
	v_ashrrev_i32_e32 v11, 31, v10
	v_lshl_add_u64 v[10:11], v[10:11], 2, v[12:13]
	global_load_dword v11, v[10:11], off
	s_branch .LBB1_16
.LBB1_39:                               ;   in Loop: Header=BB1_12 Depth=1
	v_cmp_gt_i32_e32 vcc, s7, v24
	s_and_b64 s[12:13], s[24:25], vcc
	s_and_saveexec_b64 s[4:5], s[12:13]
	s_cbranch_execz .LBB1_11
; %bb.40:                               ;   in Loop: Header=BB1_12 Depth=1
	v_add_u32_e32 v10, s11, v24
	s_and_b64 vcc, exec, s[26:27]
	v_ashrrev_i32_e32 v11, 31, v10
	s_mov_b64 s[12:13], -1
	s_cbranch_vccz .LBB1_46
; %bb.41:                               ;   in Loop: Header=BB1_12 Depth=1
	s_and_b64 vcc, exec, s[34:35]
	s_cbranch_vccz .LBB1_43
; %bb.42:                               ;   in Loop: Header=BB1_12 Depth=1
	v_mul_lo_u32 v24, s15, v10
	v_mul_lo_u32 v25, s14, v11
	v_mad_u64_u32 v[12:13], s[12:13], s14, v10, 0
	v_add3_u32 v13, v13, v25, v24
	v_lshl_add_u64 v[12:13], v[12:13], 2, v[6:7]
	global_load_dword v24, v[12:13], off
	v_mul_f32_e32 v25, s6, v23
	s_mov_b64 s[12:13], 0
	s_waitcnt vmcnt(0)
	v_fmac_f32_e32 v25, s10, v24
	global_store_dword v[12:13], v25, off
.LBB1_43:                               ;   in Loop: Header=BB1_12 Depth=1
	s_andn2_b64 vcc, exec, s[12:13]
	s_cbranch_vccnz .LBB1_45
; %bb.44:                               ;   in Loop: Header=BB1_12 Depth=1
	v_lshl_add_u64 v[12:13], v[10:11], 2, v[8:9]
	global_load_dword v24, v[12:13], off
	v_mul_f32_e32 v25, s6, v23
	s_waitcnt vmcnt(0)
	v_fmac_f32_e32 v25, s10, v24
	global_store_dword v[12:13], v25, off
.LBB1_45:                               ;   in Loop: Header=BB1_12 Depth=1
	s_mov_b64 s[12:13], 0
.LBB1_46:                               ;   in Loop: Header=BB1_12 Depth=1
	s_andn2_b64 vcc, exec, s[12:13]
	s_cbranch_vccnz .LBB1_11
; %bb.47:                               ;   in Loop: Header=BB1_12 Depth=1
	v_mul_f32_e32 v12, s6, v23
	s_mov_b64 s[12:13], -1
	s_and_b64 vcc, exec, s[34:35]
	s_cbranch_vccz .LBB1_49
; %bb.48:                               ;   in Loop: Header=BB1_12 Depth=1
	v_mul_lo_u32 v13, s15, v10
	v_mul_lo_u32 v23, s14, v11
	v_mad_u64_u32 v[24:25], s[12:13], s14, v10, 0
	v_add3_u32 v25, v25, v23, v13
	v_lshl_add_u64 v[24:25], v[24:25], 2, v[6:7]
	global_store_dword v[24:25], v12, off
	s_mov_b64 s[12:13], 0
.LBB1_49:                               ;   in Loop: Header=BB1_12 Depth=1
	s_andn2_b64 vcc, exec, s[12:13]
	s_cbranch_vccnz .LBB1_11
; %bb.50:                               ;   in Loop: Header=BB1_12 Depth=1
	v_lshl_add_u64 v[10:11], v[10:11], 2, v[8:9]
	global_store_dword v[10:11], v12, off
	s_branch .LBB1_11
.LBB1_51:
	s_endpgm
	.section	.rodata,"a",@progbits
	.p2align	6, 0x0
	.amdhsa_kernel _ZN9rocsparseL29bsrmm_general_blockdim_kernelILj32ELj32EliffffEEvb20rocsparse_direction_T2_S2_llNS_24const_host_device_scalarIT6_EEPKT1_PKS2_PKT3_S2_PKT4_llS5_PT5_ll16rocsparse_order_21rocsparse_index_base_b
		.amdhsa_group_segment_fixed_size 8192
		.amdhsa_private_segment_fixed_size 0
		.amdhsa_kernarg_size 140
		.amdhsa_user_sgpr_count 2
		.amdhsa_user_sgpr_dispatch_ptr 0
		.amdhsa_user_sgpr_queue_ptr 0
		.amdhsa_user_sgpr_kernarg_segment_ptr 1
		.amdhsa_user_sgpr_dispatch_id 0
		.amdhsa_user_sgpr_kernarg_preload_length 0
		.amdhsa_user_sgpr_kernarg_preload_offset 0
		.amdhsa_user_sgpr_private_segment_size 0
		.amdhsa_uses_dynamic_stack 0
		.amdhsa_enable_private_segment 0
		.amdhsa_system_sgpr_workgroup_id_x 1
		.amdhsa_system_sgpr_workgroup_id_y 1
		.amdhsa_system_sgpr_workgroup_id_z 0
		.amdhsa_system_sgpr_workgroup_info 0
		.amdhsa_system_vgpr_workitem_id 1
		.amdhsa_next_free_vgpr 46
		.amdhsa_next_free_sgpr 47
		.amdhsa_accum_offset 48
		.amdhsa_reserve_vcc 1
		.amdhsa_float_round_mode_32 0
		.amdhsa_float_round_mode_16_64 0
		.amdhsa_float_denorm_mode_32 3
		.amdhsa_float_denorm_mode_16_64 3
		.amdhsa_dx10_clamp 1
		.amdhsa_ieee_mode 1
		.amdhsa_fp16_overflow 0
		.amdhsa_tg_split 0
		.amdhsa_exception_fp_ieee_invalid_op 0
		.amdhsa_exception_fp_denorm_src 0
		.amdhsa_exception_fp_ieee_div_zero 0
		.amdhsa_exception_fp_ieee_overflow 0
		.amdhsa_exception_fp_ieee_underflow 0
		.amdhsa_exception_fp_ieee_inexact 0
		.amdhsa_exception_int_div_zero 0
	.end_amdhsa_kernel
	.section	.text._ZN9rocsparseL29bsrmm_general_blockdim_kernelILj32ELj32EliffffEEvb20rocsparse_direction_T2_S2_llNS_24const_host_device_scalarIT6_EEPKT1_PKS2_PKT3_S2_PKT4_llS5_PT5_ll16rocsparse_order_21rocsparse_index_base_b,"axG",@progbits,_ZN9rocsparseL29bsrmm_general_blockdim_kernelILj32ELj32EliffffEEvb20rocsparse_direction_T2_S2_llNS_24const_host_device_scalarIT6_EEPKT1_PKS2_PKT3_S2_PKT4_llS5_PT5_ll16rocsparse_order_21rocsparse_index_base_b,comdat
.Lfunc_end1:
	.size	_ZN9rocsparseL29bsrmm_general_blockdim_kernelILj32ELj32EliffffEEvb20rocsparse_direction_T2_S2_llNS_24const_host_device_scalarIT6_EEPKT1_PKS2_PKT3_S2_PKT4_llS5_PT5_ll16rocsparse_order_21rocsparse_index_base_b, .Lfunc_end1-_ZN9rocsparseL29bsrmm_general_blockdim_kernelILj32ELj32EliffffEEvb20rocsparse_direction_T2_S2_llNS_24const_host_device_scalarIT6_EEPKT1_PKS2_PKT3_S2_PKT4_llS5_PT5_ll16rocsparse_order_21rocsparse_index_base_b
                                        ; -- End function
	.set _ZN9rocsparseL29bsrmm_general_blockdim_kernelILj32ELj32EliffffEEvb20rocsparse_direction_T2_S2_llNS_24const_host_device_scalarIT6_EEPKT1_PKS2_PKT3_S2_PKT4_llS5_PT5_ll16rocsparse_order_21rocsparse_index_base_b.num_vgpr, 46
	.set _ZN9rocsparseL29bsrmm_general_blockdim_kernelILj32ELj32EliffffEEvb20rocsparse_direction_T2_S2_llNS_24const_host_device_scalarIT6_EEPKT1_PKS2_PKT3_S2_PKT4_llS5_PT5_ll16rocsparse_order_21rocsparse_index_base_b.num_agpr, 0
	.set _ZN9rocsparseL29bsrmm_general_blockdim_kernelILj32ELj32EliffffEEvb20rocsparse_direction_T2_S2_llNS_24const_host_device_scalarIT6_EEPKT1_PKS2_PKT3_S2_PKT4_llS5_PT5_ll16rocsparse_order_21rocsparse_index_base_b.numbered_sgpr, 47
	.set _ZN9rocsparseL29bsrmm_general_blockdim_kernelILj32ELj32EliffffEEvb20rocsparse_direction_T2_S2_llNS_24const_host_device_scalarIT6_EEPKT1_PKS2_PKT3_S2_PKT4_llS5_PT5_ll16rocsparse_order_21rocsparse_index_base_b.num_named_barrier, 0
	.set _ZN9rocsparseL29bsrmm_general_blockdim_kernelILj32ELj32EliffffEEvb20rocsparse_direction_T2_S2_llNS_24const_host_device_scalarIT6_EEPKT1_PKS2_PKT3_S2_PKT4_llS5_PT5_ll16rocsparse_order_21rocsparse_index_base_b.private_seg_size, 0
	.set _ZN9rocsparseL29bsrmm_general_blockdim_kernelILj32ELj32EliffffEEvb20rocsparse_direction_T2_S2_llNS_24const_host_device_scalarIT6_EEPKT1_PKS2_PKT3_S2_PKT4_llS5_PT5_ll16rocsparse_order_21rocsparse_index_base_b.uses_vcc, 1
	.set _ZN9rocsparseL29bsrmm_general_blockdim_kernelILj32ELj32EliffffEEvb20rocsparse_direction_T2_S2_llNS_24const_host_device_scalarIT6_EEPKT1_PKS2_PKT3_S2_PKT4_llS5_PT5_ll16rocsparse_order_21rocsparse_index_base_b.uses_flat_scratch, 0
	.set _ZN9rocsparseL29bsrmm_general_blockdim_kernelILj32ELj32EliffffEEvb20rocsparse_direction_T2_S2_llNS_24const_host_device_scalarIT6_EEPKT1_PKS2_PKT3_S2_PKT4_llS5_PT5_ll16rocsparse_order_21rocsparse_index_base_b.has_dyn_sized_stack, 0
	.set _ZN9rocsparseL29bsrmm_general_blockdim_kernelILj32ELj32EliffffEEvb20rocsparse_direction_T2_S2_llNS_24const_host_device_scalarIT6_EEPKT1_PKS2_PKT3_S2_PKT4_llS5_PT5_ll16rocsparse_order_21rocsparse_index_base_b.has_recursion, 0
	.set _ZN9rocsparseL29bsrmm_general_blockdim_kernelILj32ELj32EliffffEEvb20rocsparse_direction_T2_S2_llNS_24const_host_device_scalarIT6_EEPKT1_PKS2_PKT3_S2_PKT4_llS5_PT5_ll16rocsparse_order_21rocsparse_index_base_b.has_indirect_call, 0
	.section	.AMDGPU.csdata,"",@progbits
; Kernel info:
; codeLenInByte = 1828
; TotalNumSgprs: 53
; NumVgprs: 46
; NumAgprs: 0
; TotalNumVgprs: 46
; ScratchSize: 0
; MemoryBound: 0
; FloatMode: 240
; IeeeMode: 1
; LDSByteSize: 8192 bytes/workgroup (compile time only)
; SGPRBlocks: 6
; VGPRBlocks: 5
; NumSGPRsForWavesPerEU: 53
; NumVGPRsForWavesPerEU: 46
; AccumOffset: 48
; Occupancy: 8
; WaveLimiterHint : 1
; COMPUTE_PGM_RSRC2:SCRATCH_EN: 0
; COMPUTE_PGM_RSRC2:USER_SGPR: 2
; COMPUTE_PGM_RSRC2:TRAP_HANDLER: 0
; COMPUTE_PGM_RSRC2:TGID_X_EN: 1
; COMPUTE_PGM_RSRC2:TGID_Y_EN: 1
; COMPUTE_PGM_RSRC2:TGID_Z_EN: 0
; COMPUTE_PGM_RSRC2:TIDIG_COMP_CNT: 1
; COMPUTE_PGM_RSRC3_GFX90A:ACCUM_OFFSET: 11
; COMPUTE_PGM_RSRC3_GFX90A:TG_SPLIT: 0
	.section	.text._ZN9rocsparseL29bsrmm_general_blockdim_kernelILj32ELj32EllffffEEvb20rocsparse_direction_T2_S2_llNS_24const_host_device_scalarIT6_EEPKT1_PKS2_PKT3_S2_PKT4_llS5_PT5_ll16rocsparse_order_21rocsparse_index_base_b,"axG",@progbits,_ZN9rocsparseL29bsrmm_general_blockdim_kernelILj32ELj32EllffffEEvb20rocsparse_direction_T2_S2_llNS_24const_host_device_scalarIT6_EEPKT1_PKS2_PKT3_S2_PKT4_llS5_PT5_ll16rocsparse_order_21rocsparse_index_base_b,comdat
	.globl	_ZN9rocsparseL29bsrmm_general_blockdim_kernelILj32ELj32EllffffEEvb20rocsparse_direction_T2_S2_llNS_24const_host_device_scalarIT6_EEPKT1_PKS2_PKT3_S2_PKT4_llS5_PT5_ll16rocsparse_order_21rocsparse_index_base_b ; -- Begin function _ZN9rocsparseL29bsrmm_general_blockdim_kernelILj32ELj32EllffffEEvb20rocsparse_direction_T2_S2_llNS_24const_host_device_scalarIT6_EEPKT1_PKS2_PKT3_S2_PKT4_llS5_PT5_ll16rocsparse_order_21rocsparse_index_base_b
	.p2align	8
	.type	_ZN9rocsparseL29bsrmm_general_blockdim_kernelILj32ELj32EllffffEEvb20rocsparse_direction_T2_S2_llNS_24const_host_device_scalarIT6_EEPKT1_PKS2_PKT3_S2_PKT4_llS5_PT5_ll16rocsparse_order_21rocsparse_index_base_b,@function
_ZN9rocsparseL29bsrmm_general_blockdim_kernelILj32ELj32EllffffEEvb20rocsparse_direction_T2_S2_llNS_24const_host_device_scalarIT6_EEPKT1_PKS2_PKT3_S2_PKT4_llS5_PT5_ll16rocsparse_order_21rocsparse_index_base_b: ; @_ZN9rocsparseL29bsrmm_general_blockdim_kernelILj32ELj32EllffffEEvb20rocsparse_direction_T2_S2_llNS_24const_host_device_scalarIT6_EEPKT1_PKS2_PKT3_S2_PKT4_llS5_PT5_ll16rocsparse_order_21rocsparse_index_base_b
; %bb.0:
	s_load_dwordx4 s[16:19], s[0:1], 0x88
	s_mov_b32 s6, s3
	s_waitcnt lgkmcnt(0)
	s_bitcmp1_b32 s18, 0
	s_load_dwordx2 s[18:19], s[0:1], 0x28
	s_load_dwordx2 s[28:29], s[0:1], 0x68
	s_cselect_b64 s[8:9], -1, 0
	s_xor_b64 s[4:5], s[8:9], -1
	s_and_b64 vcc, exec, s[8:9]
	s_cbranch_vccnz .LBB2_2
; %bb.1:
	s_waitcnt lgkmcnt(0)
	s_load_dword s18, s[18:19], 0x0
.LBB2_2:
	s_andn2_b64 vcc, exec, s[4:5]
	s_cbranch_vccnz .LBB2_4
; %bb.3:
	s_waitcnt lgkmcnt(0)
	s_load_dword s28, s[28:29], 0x0
.LBB2_4:
	s_waitcnt lgkmcnt(0)
	v_cmp_eq_f32_e64 s[4:5], s18, 0
	v_cmp_eq_f32_e64 s[8:9], s28, 1.0
	s_and_b64 s[4:5], s[4:5], s[8:9]
	s_and_b64 vcc, exec, s[4:5]
	s_cbranch_vccnz .LBB2_53
; %bb.5:
	s_load_dwordx4 s[20:23], s[0:1], 0x8
	s_load_dwordx2 s[8:9], s[0:1], 0x30
	s_ashr_i32 s3, s2, 31
	v_mov_b64_e32 v[2:3], s[2:3]
	s_mov_b64 s[30:31], 0
	s_waitcnt lgkmcnt(0)
	v_cmp_le_i64_e32 vcc, s[20:21], v[2:3]
	v_cmp_gt_i64_e64 s[4:5], s[20:21], v[2:3]
	s_mov_b64 s[20:21], 0
	s_cbranch_vccz .LBB2_8
; %bb.6:
	s_andn2_b64 vcc, exec, s[4:5]
	s_cbranch_vccz .LBB2_9
.LBB2_7:
	s_load_dwordx2 s[34:35], s[0:1], 0x48
	s_waitcnt lgkmcnt(0)
	v_cmp_lt_i64_e64 s[8:9], s[34:35], 1
	s_and_b64 vcc, exec, s[8:9]
	s_cbranch_vccz .LBB2_10
	s_branch .LBB2_53
.LBB2_8:
	s_lshl_b64 s[10:11], s[2:3], 3
	s_add_u32 s10, s8, s10
	s_addc_u32 s11, s9, s11
	s_load_dwordx2 s[10:11], s[10:11], 0x0
	s_waitcnt lgkmcnt(0)
	s_sub_u32 s30, s10, s17
	s_subb_u32 s31, s11, 0
	s_andn2_b64 vcc, exec, s[4:5]
	s_cbranch_vccnz .LBB2_7
.LBB2_9:
	s_lshl_b64 s[10:11], s[2:3], 3
	s_add_u32 s8, s8, s10
	s_addc_u32 s9, s9, s11
	s_load_dwordx2 s[8:9], s[8:9], 0x8
	s_waitcnt lgkmcnt(0)
	s_sub_u32 s20, s8, s17
	s_subb_u32 s21, s9, 0
	s_load_dwordx2 s[34:35], s[0:1], 0x48
	s_waitcnt lgkmcnt(0)
	v_cmp_lt_i64_e64 s[8:9], s[34:35], 1
	s_and_b64 vcc, exec, s[8:9]
	s_cbranch_vccnz .LBB2_53
.LBB2_10:
	s_load_dwordx4 s[8:11], s[0:1], 0x70
	s_load_dwordx4 s[24:27], s[0:1], 0x50
	s_load_dwordx4 s[12:15], s[0:1], 0x38
	s_load_dwordx2 s[38:39], s[0:1], 0x0
	v_bfe_u32 v2, v0, 10, 10
	v_lshl_add_u32 v16, s6, 5, v2
	s_mul_i32 s36, s34, s2
	v_mov_b32_e32 v17, 0
	s_waitcnt lgkmcnt(0)
	s_bitcmp1_b32 s38, 0
	s_cselect_b64 s[0:1], -1, 0
	s_xor_b64 s[6:7], s[0:1], -1
	s_mul_i32 s0, s35, s2
	s_mul_hi_u32 s1, s34, s2
	v_mad_u64_u32 v[8:9], s[2:3], s10, v16, 0
	v_mov_b32_e32 v10, v9
	v_mad_u64_u32 v[10:11], s[2:3], s11, v16, v[10:11]
	s_add_i32 s37, s1, s0
	v_mov_b32_e32 v9, v10
	v_mad_u64_u32 v[10:11], s[2:3], s26, v16, 0
	v_cmp_gt_i64_e64 s[0:1], s[22:23], v[16:17]
	s_cmp_lg_u32 s39, 0
	v_mov_b32_e32 v14, v11
	s_cselect_b64 s[22:23], -1, 0
	s_and_b64 s[38:39], s[4:5], s[0:1]
	v_mad_u64_u32 v[14:15], s[2:3], s27, v16, v[14:15]
	s_cmp_lg_u32 s16, 1
	s_mul_i32 s2, s30, s35
	s_mul_hi_u32 s3, s30, s34
	s_mov_b32 s19, s17
	s_cselect_b64 s[16:17], -1, 0
	s_add_i32 s2, s3, s2
	s_mul_i32 s3, s31, s34
	v_and_b32_e32 v0, 0x3ff, v0
	s_add_i32 s3, s2, s3
	s_mul_i32 s2, s30, s34
	v_lshlrev_b32_e32 v6, 2, v0
	v_mov_b32_e32 v7, v17
	s_lshl_b64 s[2:3], s[2:3], 2
	v_lshlrev_b64 v[12:13], 2, v[16:17]
	v_mov_b32_e32 v11, v14
	v_lshl_add_u64 v[14:15], s[2:3], 0, v[6:7]
	v_lshlrev_b32_e32 v16, 2, v2
	v_mul_lo_u32 v21, s34, v15
	v_mul_lo_u32 v22, s35, v14
	v_mad_u64_u32 v[14:15], s[4:5], s34, v14, v[16:17]
	v_mov_b32_e32 v1, v17
	v_mov_b64_e32 v[18:19], s[20:21]
	v_mov_b32_e32 v3, v17
	s_mul_i32 s4, s34, s35
	s_mul_hi_u32 s5, s34, s34
	v_lshl_add_u64 v[16:17], s[2:3], 0, v[16:17]
	v_add3_u32 v15, v22, v15, v21
	s_add_i32 s5, s5, s4
	v_mul_lo_u32 v21, s34, v17
	v_mul_lo_u32 v22, s35, v16
	v_mad_u64_u32 v[16:17], s[2:3], s34, v16, v[6:7]
	v_cmp_lt_i64_e32 vcc, s[30:31], v[18:19]
	v_or_b32_e32 v20, 0x1000, v6
	v_lshlrev_b32_e32 v32, 7, v2
	v_lshl_add_u64 v[10:11], v[10:11], 2, v[6:7]
	s_add_i32 s5, s5, s4
	s_mul_i32 s4, s34, s34
	v_add3_u32 v17, v22, v17, v21
	v_cndmask_b32_e64 v7, 0, 1, vcc
	v_lshl_add_u64 v[4:5], s[8:9], 0, v[12:13]
	v_cmp_neq_f32_e64 s[40:41], s28, 0
	v_lshl_add_u64 v[8:9], v[8:9], 2, s[8:9]
	v_lshl_add_u64 v[10:11], s[24:25], 0, v[10:11]
	s_lshl_b64 s[8:9], s[34:35], 2
	v_lshl_add_u64 v[12:13], s[24:25], 0, v[12:13]
	s_lshl_b64 s[24:25], s[26:27], 2
	s_lshl_b64 s[26:27], s[26:27], 7
	v_lshl_add_u64 v[14:15], s[14:15], 0, v[14:15]
	s_lshl_b64 s[42:43], s[34:35], 7
	s_lshl_b64 s[44:45], s[4:5], 2
	v_lshl_add_u64 v[16:17], s[14:15], 0, v[16:17]
	s_mov_b64 s[14:15], 0
	v_cmp_ne_u32_e64 s[2:3], 1, v7
	v_add_u32_e32 v7, v20, v32
	s_mov_b64 s[46:47], 0x80
	s_branch .LBB2_12
.LBB2_11:                               ;   in Loop: Header=BB2_12 Depth=1
	s_or_b64 exec, exec, s[4:5]
	s_add_u32 s14, s14, 32
	s_addc_u32 s15, s15, 0
	v_mov_b64_e32 v[18:19], s[34:35]
	v_cmp_lt_i64_e32 vcc, s[14:15], v[18:19]
	v_lshl_add_u64 v[14:15], v[14:15], 0, s[42:43]
	v_lshl_add_u64 v[16:17], v[16:17], 0, s[46:47]
	s_cbranch_vccz .LBB2_53
.LBB2_12:                               ; =>This Loop Header: Depth=1
                                        ;     Child Loop BB2_15 Depth 2
                                        ;       Child Loop BB2_19 Depth 3
	v_lshl_add_u64 v[18:19], s[14:15], 0, v[0:1]
	s_and_b64 vcc, exec, s[2:3]
	v_cmp_gt_i64_e64 s[4:5], s[34:35], v[18:19]
	v_mov_b32_e32 v33, 0
	s_cbranch_vccnz .LBB2_41
; %bb.13:                               ;   in Loop: Header=BB2_12 Depth=1
	v_mov_b32_e32 v33, 0
	v_mov_b64_e32 v[20:21], v[16:17]
	v_mov_b64_e32 v[22:23], v[14:15]
	s_mov_b64 s[48:49], s[30:31]
	s_branch .LBB2_15
.LBB2_14:                               ;   in Loop: Header=BB2_15 Depth=2
	s_add_u32 s48, s48, 1
	s_addc_u32 s49, s49, 0
	v_mov_b64_e32 v[24:25], s[20:21]
	v_cmp_ge_i64_e32 vcc, s[48:49], v[24:25]
	v_lshl_add_u64 v[22:23], v[22:23], 0, s[44:45]
	v_lshl_add_u64 v[20:21], v[20:21], 0, s[44:45]
	s_cbranch_vccnz .LBB2_41
.LBB2_15:                               ;   Parent Loop BB2_12 Depth=1
                                        ; =>  This Loop Header: Depth=2
                                        ;       Child Loop BB2_19 Depth 3
	s_lshl_b64 s[50:51], s[48:49], 3
	s_add_u32 s50, s12, s50
	s_addc_u32 s51, s13, s51
	s_load_dwordx2 s[50:51], s[50:51], 0x0
	v_mov_b32_e32 v26, s34
	v_mov_b64_e32 v[30:31], v[22:23]
	s_waitcnt lgkmcnt(0)
	s_sub_u32 s29, s50, s19
	v_mov_b32_e32 v24, s29
	s_subb_u32 s33, s51, 0
	v_mad_u64_u32 v[24:25], s[50:51], s8, v24, v[10:11]
	s_mul_i32 s53, s8, s33
	s_mul_i32 s33, s33, s34
	;; [unrolled: 1-line block ×3, first 2 shown]
	s_add_i32 s33, s50, s33
	v_mad_u64_u32 v[26:27], s[50:51], s29, v26, v[0:1]
	s_mul_i32 s52, s9, s29
	v_add_u32_e32 v27, s33, v27
	s_add_i32 s53, s53, s52
	v_mul_lo_u32 v28, s24, v27
	v_mul_lo_u32 v29, s25, v26
	v_mad_u64_u32 v[26:27], s[50:51], s24, v26, v[12:13]
	v_add_u32_e32 v25, s53, v25
	v_add3_u32 v27, v29, v27, v28
	s_mov_b64 s[50:51], 0
	v_mov_b64_e32 v[28:29], v[20:21]
	s_branch .LBB2_19
.LBB2_16:                               ;   in Loop: Header=BB2_19 Depth=3
	s_or_b64 exec, exec, s[54:55]
.LBB2_17:                               ;   in Loop: Header=BB2_19 Depth=3
	s_or_b64 exec, exec, s[52:53]
.LBB2_18:                               ;   in Loop: Header=BB2_19 Depth=3
	v_add_u32_e32 v35, v6, v32
	s_waitcnt vmcnt(0)
	ds_write_b32 v35, v34
	s_waitcnt lgkmcnt(0)
	s_barrier
	ds_read2_b32 v[50:51], v6 offset1:32
	ds_read_b128 v[34:37], v32 offset:4096
	ds_read_b128 v[38:41], v32 offset:4112
	ds_read2_b32 v[52:53], v6 offset0:64 offset1:96
	ds_read_b128 v[42:45], v32 offset:4128
	ds_read_b128 v[46:49], v32 offset:4144
	ds_read2_b32 v[54:55], v6 offset0:128 offset1:160
	s_waitcnt lgkmcnt(5)
	v_fmac_f32_e32 v33, v50, v34
	v_fmac_f32_e32 v33, v51, v35
	ds_read2_b32 v[34:35], v6 offset0:192 offset1:224
	s_waitcnt lgkmcnt(4)
	v_fmac_f32_e32 v33, v52, v36
	v_fmac_f32_e32 v33, v53, v37
	s_waitcnt lgkmcnt(1)
	v_fmac_f32_e32 v33, v54, v38
	v_add_u32_e32 v50, 0x400, v6
	ds_read2_b32 v[36:37], v50 offset1:32
	v_fmac_f32_e32 v33, v55, v39
	s_waitcnt lgkmcnt(1)
	v_fmac_f32_e32 v33, v34, v40
	v_fmac_f32_e32 v33, v35, v41
	ds_read2_b32 v[34:35], v50 offset0:64 offset1:96
	ds_read2_b32 v[38:39], v50 offset0:128 offset1:160
	s_waitcnt lgkmcnt(2)
	v_fmac_f32_e32 v33, v36, v42
	v_fmac_f32_e32 v33, v37, v43
	ds_read2_b32 v[40:41], v50 offset0:192 offset1:224
	s_waitcnt lgkmcnt(2)
	v_fmac_f32_e32 v33, v34, v44
	v_fmac_f32_e32 v33, v35, v45
	s_waitcnt lgkmcnt(1)
	v_fmac_f32_e32 v33, v38, v46
	v_fmac_f32_e32 v33, v39, v47
	s_waitcnt lgkmcnt(0)
	v_fmac_f32_e32 v33, v40, v48
	v_add_u32_e32 v48, 0x800, v6
	ds_read2_b32 v[42:43], v48 offset1:32
	ds_read_b128 v[34:37], v32 offset:4160
	v_fmac_f32_e32 v33, v41, v49
	ds_read2_b32 v[44:45], v48 offset0:64 offset1:96
	ds_read2_b32 v[46:47], v48 offset0:128 offset1:160
	ds_read_b128 v[38:41], v32 offset:4176
	s_add_u32 s50, s50, 32
	s_addc_u32 s51, s51, 0
	s_waitcnt lgkmcnt(3)
	v_fmac_f32_e32 v33, v42, v34
	v_fmac_f32_e32 v33, v43, v35
	ds_read2_b32 v[42:43], v48 offset0:192 offset1:224
	s_waitcnt lgkmcnt(3)
	v_fmac_f32_e32 v33, v44, v36
	v_fmac_f32_e32 v33, v45, v37
	v_add_u32_e32 v48, 0xc00, v6
	s_waitcnt lgkmcnt(1)
	v_fmac_f32_e32 v33, v46, v38
	ds_read2_b32 v[44:45], v48 offset1:32
	ds_read_b128 v[34:37], v32 offset:4192
	v_fmac_f32_e32 v33, v47, v39
	s_waitcnt lgkmcnt(2)
	v_fmac_f32_e32 v33, v42, v40
	v_fmac_f32_e32 v33, v43, v41
	ds_read2_b32 v[42:43], v48 offset0:64 offset1:96
	ds_read_b128 v[38:41], v32 offset:4208
	ds_read2_b32 v[46:47], v48 offset0:128 offset1:160
	s_waitcnt lgkmcnt(3)
	v_fmac_f32_e32 v33, v44, v34
	v_fmac_f32_e32 v33, v45, v35
	ds_read2_b32 v[34:35], v48 offset0:192 offset1:224
	s_waitcnt lgkmcnt(3)
	v_fmac_f32_e32 v33, v42, v36
	v_fmac_f32_e32 v33, v43, v37
	s_waitcnt lgkmcnt(1)
	v_fmac_f32_e32 v33, v46, v38
	v_fmac_f32_e32 v33, v47, v39
	;; [unrolled: 3-line block ×3, first 2 shown]
	v_mov_b64_e32 v[34:35], s[34:35]
	v_cmp_ge_i64_e32 vcc, s[50:51], v[34:35]
	v_lshl_add_u64 v[24:25], v[24:25], 0, s[46:47]
	v_lshl_add_u64 v[26:27], v[26:27], 0, s[26:27]
	;; [unrolled: 1-line block ×4, first 2 shown]
	s_barrier
	s_cbranch_vccnz .LBB2_14
.LBB2_19:                               ;   Parent Loop BB2_12 Depth=1
                                        ;     Parent Loop BB2_15 Depth=2
                                        ; =>    This Inner Loop Header: Depth=3
	s_mov_b64 s[52:53], -1
	s_and_b64 vcc, exec, s[6:7]
                                        ; implicit-def: $vgpr34
	s_cbranch_vccnz .LBB2_27
; %bb.20:                               ;   in Loop: Header=BB2_19 Depth=3
	s_andn2_b64 vcc, exec, s[52:53]
	s_cbranch_vccz .LBB2_32
.LBB2_21:                               ;   in Loop: Header=BB2_19 Depth=3
	s_and_b64 vcc, exec, s[22:23]
	s_waitcnt vmcnt(0)
	ds_write_b32 v7, v34
	s_cbranch_vccz .LBB2_37
.LBB2_22:                               ;   in Loop: Header=BB2_19 Depth=3
	v_mov_b32_e32 v34, 0
	s_and_saveexec_b64 s[52:53], s[4:5]
	s_cbranch_execz .LBB2_26
; %bb.23:                               ;   in Loop: Header=BB2_19 Depth=3
	v_lshl_add_u64 v[34:35], v[2:3], 0, s[50:51]
	v_cmp_gt_i64_e32 vcc, s[34:35], v[34:35]
	v_mov_b32_e32 v34, 0
	s_and_saveexec_b64 s[54:55], vcc
	s_cbranch_execz .LBB2_25
; %bb.24:                               ;   in Loop: Header=BB2_19 Depth=3
	global_load_dword v34, v[28:29], off
.LBB2_25:                               ;   in Loop: Header=BB2_19 Depth=3
	s_or_b64 exec, exec, s[54:55]
.LBB2_26:                               ;   in Loop: Header=BB2_19 Depth=3
	s_or_b64 exec, exec, s[52:53]
	s_cbranch_execnz .LBB2_18
	s_branch .LBB2_38
.LBB2_27:                               ;   in Loop: Header=BB2_19 Depth=3
	v_mov_b32_e32 v34, 0
	s_and_saveexec_b64 s[52:53], s[0:1]
	s_cbranch_execz .LBB2_31
; %bb.28:                               ;   in Loop: Header=BB2_19 Depth=3
	v_lshl_add_u64 v[34:35], v[0:1], 0, s[50:51]
	v_cmp_gt_i64_e32 vcc, s[34:35], v[34:35]
	v_mov_b32_e32 v34, 0
	s_and_saveexec_b64 s[54:55], vcc
	s_cbranch_execz .LBB2_30
; %bb.29:                               ;   in Loop: Header=BB2_19 Depth=3
	global_load_dword v34, v[26:27], off
.LBB2_30:                               ;   in Loop: Header=BB2_19 Depth=3
	s_or_b64 exec, exec, s[54:55]
.LBB2_31:                               ;   in Loop: Header=BB2_19 Depth=3
	s_or_b64 exec, exec, s[52:53]
	s_cbranch_execnz .LBB2_21
.LBB2_32:                               ;   in Loop: Header=BB2_19 Depth=3
	s_waitcnt vmcnt(0)
	v_mov_b32_e32 v34, 0
	s_and_saveexec_b64 s[52:53], s[0:1]
	s_cbranch_execz .LBB2_36
; %bb.33:                               ;   in Loop: Header=BB2_19 Depth=3
	v_lshl_add_u64 v[34:35], v[0:1], 0, s[50:51]
	v_cmp_gt_i64_e32 vcc, s[34:35], v[34:35]
	v_mov_b32_e32 v34, 0
	s_and_saveexec_b64 s[54:55], vcc
	s_cbranch_execz .LBB2_35
; %bb.34:                               ;   in Loop: Header=BB2_19 Depth=3
	global_load_dword v34, v[24:25], off
.LBB2_35:                               ;   in Loop: Header=BB2_19 Depth=3
	s_or_b64 exec, exec, s[54:55]
.LBB2_36:                               ;   in Loop: Header=BB2_19 Depth=3
	s_or_b64 exec, exec, s[52:53]
	s_and_b64 vcc, exec, s[22:23]
	s_waitcnt vmcnt(0)
	ds_write_b32 v7, v34
	s_cbranch_vccnz .LBB2_22
.LBB2_37:                               ;   in Loop: Header=BB2_19 Depth=3
                                        ; implicit-def: $vgpr34
.LBB2_38:                               ;   in Loop: Header=BB2_19 Depth=3
	s_waitcnt vmcnt(0)
	v_mov_b32_e32 v34, 0
	s_and_saveexec_b64 s[52:53], s[4:5]
	s_cbranch_execz .LBB2_17
; %bb.39:                               ;   in Loop: Header=BB2_19 Depth=3
	v_lshl_add_u64 v[34:35], v[2:3], 0, s[50:51]
	v_cmp_gt_i64_e32 vcc, s[34:35], v[34:35]
	v_mov_b32_e32 v34, 0
	s_and_saveexec_b64 s[54:55], vcc
	s_cbranch_execz .LBB2_16
; %bb.40:                               ;   in Loop: Header=BB2_19 Depth=3
	global_load_dword v34, v[30:31], off
	s_branch .LBB2_16
.LBB2_41:                               ;   in Loop: Header=BB2_12 Depth=1
	v_cmp_gt_i64_e32 vcc, s[34:35], v[18:19]
	s_and_b64 s[48:49], s[38:39], vcc
	s_and_saveexec_b64 s[4:5], s[48:49]
	s_cbranch_execz .LBB2_11
; %bb.42:                               ;   in Loop: Header=BB2_12 Depth=1
	v_lshl_add_u64 v[18:19], v[18:19], 0, s[36:37]
	s_mov_b64 s[48:49], -1
	s_and_b64 vcc, exec, s[40:41]
	s_cbranch_vccz .LBB2_48
; %bb.43:                               ;   in Loop: Header=BB2_12 Depth=1
	s_and_b64 vcc, exec, s[16:17]
	s_cbranch_vccz .LBB2_45
; %bb.44:                               ;   in Loop: Header=BB2_12 Depth=1
	v_mul_lo_u32 v22, v19, s10
	v_mul_lo_u32 v23, v18, s11
	v_mad_u64_u32 v[20:21], s[48:49], v18, s10, 0
	v_add3_u32 v21, v21, v23, v22
	v_lshl_add_u64 v[20:21], v[20:21], 2, v[4:5]
	global_load_dword v22, v[20:21], off
	v_mul_f32_e32 v23, s18, v33
	s_mov_b64 s[48:49], 0
	s_waitcnt vmcnt(0)
	v_fmac_f32_e32 v23, s28, v22
	global_store_dword v[20:21], v23, off
.LBB2_45:                               ;   in Loop: Header=BB2_12 Depth=1
	s_andn2_b64 vcc, exec, s[48:49]
	s_cbranch_vccnz .LBB2_47
; %bb.46:                               ;   in Loop: Header=BB2_12 Depth=1
	v_lshl_add_u64 v[20:21], v[18:19], 2, v[8:9]
	global_load_dword v22, v[20:21], off
	v_mul_f32_e32 v23, s18, v33
	s_waitcnt vmcnt(0)
	v_fmac_f32_e32 v23, s28, v22
	global_store_dword v[20:21], v23, off
.LBB2_47:                               ;   in Loop: Header=BB2_12 Depth=1
	s_mov_b64 s[48:49], 0
.LBB2_48:                               ;   in Loop: Header=BB2_12 Depth=1
	s_andn2_b64 vcc, exec, s[48:49]
	s_cbranch_vccnz .LBB2_11
; %bb.49:                               ;   in Loop: Header=BB2_12 Depth=1
	v_mul_f32_e32 v20, s18, v33
	s_mov_b64 s[48:49], -1
	s_and_b64 vcc, exec, s[16:17]
	s_cbranch_vccz .LBB2_51
; %bb.50:                               ;   in Loop: Header=BB2_12 Depth=1
	v_mul_lo_u32 v21, v19, s10
	v_mul_lo_u32 v24, v18, s11
	v_mad_u64_u32 v[22:23], s[48:49], v18, s10, 0
	v_add3_u32 v23, v23, v24, v21
	v_lshl_add_u64 v[22:23], v[22:23], 2, v[4:5]
	global_store_dword v[22:23], v20, off
	s_mov_b64 s[48:49], 0
.LBB2_51:                               ;   in Loop: Header=BB2_12 Depth=1
	s_andn2_b64 vcc, exec, s[48:49]
	s_cbranch_vccnz .LBB2_11
; %bb.52:                               ;   in Loop: Header=BB2_12 Depth=1
	v_lshl_add_u64 v[18:19], v[18:19], 2, v[8:9]
	global_store_dword v[18:19], v20, off
	s_branch .LBB2_11
.LBB2_53:
	s_endpgm
	.section	.rodata,"a",@progbits
	.p2align	6, 0x0
	.amdhsa_kernel _ZN9rocsparseL29bsrmm_general_blockdim_kernelILj32ELj32EllffffEEvb20rocsparse_direction_T2_S2_llNS_24const_host_device_scalarIT6_EEPKT1_PKS2_PKT3_S2_PKT4_llS5_PT5_ll16rocsparse_order_21rocsparse_index_base_b
		.amdhsa_group_segment_fixed_size 8192
		.amdhsa_private_segment_fixed_size 0
		.amdhsa_kernarg_size 148
		.amdhsa_user_sgpr_count 2
		.amdhsa_user_sgpr_dispatch_ptr 0
		.amdhsa_user_sgpr_queue_ptr 0
		.amdhsa_user_sgpr_kernarg_segment_ptr 1
		.amdhsa_user_sgpr_dispatch_id 0
		.amdhsa_user_sgpr_kernarg_preload_length 0
		.amdhsa_user_sgpr_kernarg_preload_offset 0
		.amdhsa_user_sgpr_private_segment_size 0
		.amdhsa_uses_dynamic_stack 0
		.amdhsa_enable_private_segment 0
		.amdhsa_system_sgpr_workgroup_id_x 1
		.amdhsa_system_sgpr_workgroup_id_y 1
		.amdhsa_system_sgpr_workgroup_id_z 0
		.amdhsa_system_sgpr_workgroup_info 0
		.amdhsa_system_vgpr_workitem_id 1
		.amdhsa_next_free_vgpr 56
		.amdhsa_next_free_sgpr 56
		.amdhsa_accum_offset 56
		.amdhsa_reserve_vcc 1
		.amdhsa_float_round_mode_32 0
		.amdhsa_float_round_mode_16_64 0
		.amdhsa_float_denorm_mode_32 3
		.amdhsa_float_denorm_mode_16_64 3
		.amdhsa_dx10_clamp 1
		.amdhsa_ieee_mode 1
		.amdhsa_fp16_overflow 0
		.amdhsa_tg_split 0
		.amdhsa_exception_fp_ieee_invalid_op 0
		.amdhsa_exception_fp_denorm_src 0
		.amdhsa_exception_fp_ieee_div_zero 0
		.amdhsa_exception_fp_ieee_overflow 0
		.amdhsa_exception_fp_ieee_underflow 0
		.amdhsa_exception_fp_ieee_inexact 0
		.amdhsa_exception_int_div_zero 0
	.end_amdhsa_kernel
	.section	.text._ZN9rocsparseL29bsrmm_general_blockdim_kernelILj32ELj32EllffffEEvb20rocsparse_direction_T2_S2_llNS_24const_host_device_scalarIT6_EEPKT1_PKS2_PKT3_S2_PKT4_llS5_PT5_ll16rocsparse_order_21rocsparse_index_base_b,"axG",@progbits,_ZN9rocsparseL29bsrmm_general_blockdim_kernelILj32ELj32EllffffEEvb20rocsparse_direction_T2_S2_llNS_24const_host_device_scalarIT6_EEPKT1_PKS2_PKT3_S2_PKT4_llS5_PT5_ll16rocsparse_order_21rocsparse_index_base_b,comdat
.Lfunc_end2:
	.size	_ZN9rocsparseL29bsrmm_general_blockdim_kernelILj32ELj32EllffffEEvb20rocsparse_direction_T2_S2_llNS_24const_host_device_scalarIT6_EEPKT1_PKS2_PKT3_S2_PKT4_llS5_PT5_ll16rocsparse_order_21rocsparse_index_base_b, .Lfunc_end2-_ZN9rocsparseL29bsrmm_general_blockdim_kernelILj32ELj32EllffffEEvb20rocsparse_direction_T2_S2_llNS_24const_host_device_scalarIT6_EEPKT1_PKS2_PKT3_S2_PKT4_llS5_PT5_ll16rocsparse_order_21rocsparse_index_base_b
                                        ; -- End function
	.set _ZN9rocsparseL29bsrmm_general_blockdim_kernelILj32ELj32EllffffEEvb20rocsparse_direction_T2_S2_llNS_24const_host_device_scalarIT6_EEPKT1_PKS2_PKT3_S2_PKT4_llS5_PT5_ll16rocsparse_order_21rocsparse_index_base_b.num_vgpr, 56
	.set _ZN9rocsparseL29bsrmm_general_blockdim_kernelILj32ELj32EllffffEEvb20rocsparse_direction_T2_S2_llNS_24const_host_device_scalarIT6_EEPKT1_PKS2_PKT3_S2_PKT4_llS5_PT5_ll16rocsparse_order_21rocsparse_index_base_b.num_agpr, 0
	.set _ZN9rocsparseL29bsrmm_general_blockdim_kernelILj32ELj32EllffffEEvb20rocsparse_direction_T2_S2_llNS_24const_host_device_scalarIT6_EEPKT1_PKS2_PKT3_S2_PKT4_llS5_PT5_ll16rocsparse_order_21rocsparse_index_base_b.numbered_sgpr, 56
	.set _ZN9rocsparseL29bsrmm_general_blockdim_kernelILj32ELj32EllffffEEvb20rocsparse_direction_T2_S2_llNS_24const_host_device_scalarIT6_EEPKT1_PKS2_PKT3_S2_PKT4_llS5_PT5_ll16rocsparse_order_21rocsparse_index_base_b.num_named_barrier, 0
	.set _ZN9rocsparseL29bsrmm_general_blockdim_kernelILj32ELj32EllffffEEvb20rocsparse_direction_T2_S2_llNS_24const_host_device_scalarIT6_EEPKT1_PKS2_PKT3_S2_PKT4_llS5_PT5_ll16rocsparse_order_21rocsparse_index_base_b.private_seg_size, 0
	.set _ZN9rocsparseL29bsrmm_general_blockdim_kernelILj32ELj32EllffffEEvb20rocsparse_direction_T2_S2_llNS_24const_host_device_scalarIT6_EEPKT1_PKS2_PKT3_S2_PKT4_llS5_PT5_ll16rocsparse_order_21rocsparse_index_base_b.uses_vcc, 1
	.set _ZN9rocsparseL29bsrmm_general_blockdim_kernelILj32ELj32EllffffEEvb20rocsparse_direction_T2_S2_llNS_24const_host_device_scalarIT6_EEPKT1_PKS2_PKT3_S2_PKT4_llS5_PT5_ll16rocsparse_order_21rocsparse_index_base_b.uses_flat_scratch, 0
	.set _ZN9rocsparseL29bsrmm_general_blockdim_kernelILj32ELj32EllffffEEvb20rocsparse_direction_T2_S2_llNS_24const_host_device_scalarIT6_EEPKT1_PKS2_PKT3_S2_PKT4_llS5_PT5_ll16rocsparse_order_21rocsparse_index_base_b.has_dyn_sized_stack, 0
	.set _ZN9rocsparseL29bsrmm_general_blockdim_kernelILj32ELj32EllffffEEvb20rocsparse_direction_T2_S2_llNS_24const_host_device_scalarIT6_EEPKT1_PKS2_PKT3_S2_PKT4_llS5_PT5_ll16rocsparse_order_21rocsparse_index_base_b.has_recursion, 0
	.set _ZN9rocsparseL29bsrmm_general_blockdim_kernelILj32ELj32EllffffEEvb20rocsparse_direction_T2_S2_llNS_24const_host_device_scalarIT6_EEPKT1_PKS2_PKT3_S2_PKT4_llS5_PT5_ll16rocsparse_order_21rocsparse_index_base_b.has_indirect_call, 0
	.section	.AMDGPU.csdata,"",@progbits
; Kernel info:
; codeLenInByte = 2088
; TotalNumSgprs: 62
; NumVgprs: 56
; NumAgprs: 0
; TotalNumVgprs: 56
; ScratchSize: 0
; MemoryBound: 0
; FloatMode: 240
; IeeeMode: 1
; LDSByteSize: 8192 bytes/workgroup (compile time only)
; SGPRBlocks: 7
; VGPRBlocks: 6
; NumSGPRsForWavesPerEU: 62
; NumVGPRsForWavesPerEU: 56
; AccumOffset: 56
; Occupancy: 8
; WaveLimiterHint : 1
; COMPUTE_PGM_RSRC2:SCRATCH_EN: 0
; COMPUTE_PGM_RSRC2:USER_SGPR: 2
; COMPUTE_PGM_RSRC2:TRAP_HANDLER: 0
; COMPUTE_PGM_RSRC2:TGID_X_EN: 1
; COMPUTE_PGM_RSRC2:TGID_Y_EN: 1
; COMPUTE_PGM_RSRC2:TGID_Z_EN: 0
; COMPUTE_PGM_RSRC2:TIDIG_COMP_CNT: 1
; COMPUTE_PGM_RSRC3_GFX90A:ACCUM_OFFSET: 13
; COMPUTE_PGM_RSRC3_GFX90A:TG_SPLIT: 0
	.section	.text._ZN9rocsparseL29bsrmm_general_blockdim_kernelILj32ELj32EiiddddEEvb20rocsparse_direction_T2_S2_llNS_24const_host_device_scalarIT6_EEPKT1_PKS2_PKT3_S2_PKT4_llS5_PT5_ll16rocsparse_order_21rocsparse_index_base_b,"axG",@progbits,_ZN9rocsparseL29bsrmm_general_blockdim_kernelILj32ELj32EiiddddEEvb20rocsparse_direction_T2_S2_llNS_24const_host_device_scalarIT6_EEPKT1_PKS2_PKT3_S2_PKT4_llS5_PT5_ll16rocsparse_order_21rocsparse_index_base_b,comdat
	.globl	_ZN9rocsparseL29bsrmm_general_blockdim_kernelILj32ELj32EiiddddEEvb20rocsparse_direction_T2_S2_llNS_24const_host_device_scalarIT6_EEPKT1_PKS2_PKT3_S2_PKT4_llS5_PT5_ll16rocsparse_order_21rocsparse_index_base_b ; -- Begin function _ZN9rocsparseL29bsrmm_general_blockdim_kernelILj32ELj32EiiddddEEvb20rocsparse_direction_T2_S2_llNS_24const_host_device_scalarIT6_EEPKT1_PKS2_PKT3_S2_PKT4_llS5_PT5_ll16rocsparse_order_21rocsparse_index_base_b
	.p2align	8
	.type	_ZN9rocsparseL29bsrmm_general_blockdim_kernelILj32ELj32EiiddddEEvb20rocsparse_direction_T2_S2_llNS_24const_host_device_scalarIT6_EEPKT1_PKS2_PKT3_S2_PKT4_llS5_PT5_ll16rocsparse_order_21rocsparse_index_base_b,@function
_ZN9rocsparseL29bsrmm_general_blockdim_kernelILj32ELj32EiiddddEEvb20rocsparse_direction_T2_S2_llNS_24const_host_device_scalarIT6_EEPKT1_PKS2_PKT3_S2_PKT4_llS5_PT5_ll16rocsparse_order_21rocsparse_index_base_b: ; @_ZN9rocsparseL29bsrmm_general_blockdim_kernelILj32ELj32EiiddddEEvb20rocsparse_direction_T2_S2_llNS_24const_host_device_scalarIT6_EEPKT1_PKS2_PKT3_S2_PKT4_llS5_PT5_ll16rocsparse_order_21rocsparse_index_base_b
; %bb.0:
	s_load_dwordx4 s[8:11], s[0:1], 0x80
	s_load_dwordx2 s[12:13], s[0:1], 0x20
	s_load_dwordx2 s[6:7], s[0:1], 0x60
	s_mov_b32 s4, s3
	s_waitcnt lgkmcnt(0)
	s_bitcmp1_b32 s10, 0
	s_cselect_b64 s[14:15], -1, 0
	s_xor_b64 s[10:11], s[14:15], -1
	s_and_b64 vcc, exec, s[14:15]
	v_mov_b64_e32 v[2:3], s[12:13]
	s_cbranch_vccnz .LBB3_2
; %bb.1:
	v_mov_b64_e32 v[2:3], s[12:13]
	flat_load_dwordx2 v[2:3], v[2:3]
.LBB3_2:
	s_andn2_b64 vcc, exec, s[10:11]
	v_mov_b64_e32 v[4:5], s[6:7]
	s_cbranch_vccnz .LBB3_4
; %bb.3:
	v_mov_b64_e32 v[4:5], s[6:7]
	flat_load_dwordx2 v[4:5], v[4:5]
.LBB3_4:
	s_waitcnt vmcnt(0) lgkmcnt(0)
	v_cmp_neq_f64_e32 vcc, 0, v[2:3]
	v_cmp_neq_f64_e64 s[6:7], 1.0, v[4:5]
	s_or_b64 s[6:7], vcc, s[6:7]
	s_and_saveexec_b64 s[10:11], s[6:7]
	s_cbranch_execz .LBB3_54
; %bb.5:
	s_load_dwordx4 s[24:27], s[0:1], 0x0
	s_load_dwordx2 s[10:11], s[0:1], 0x28
	s_mov_b32 s33, 0
	s_mov_b32 s38, 0
	s_waitcnt lgkmcnt(0)
	s_cmp_lt_i32 s2, s26
	s_cselect_b64 s[6:7], -1, 0
	s_cmp_ge_i32 s2, s26
	s_cbranch_scc0 .LBB3_8
; %bb.6:
	s_andn2_b64 vcc, exec, s[6:7]
	s_cbranch_vccz .LBB3_9
.LBB3_7:
	s_load_dword s39, s[0:1], 0x40
	s_waitcnt lgkmcnt(0)
	s_cmp_lt_i32 s39, 1
	s_cbranch_scc0 .LBB3_10
	s_branch .LBB3_54
.LBB3_8:
	s_ashr_i32 s3, s2, 31
	s_lshl_b64 s[12:13], s[2:3], 2
	s_add_u32 s12, s10, s12
	s_addc_u32 s13, s11, s13
	s_load_dword s3, s[12:13], 0x0
	s_waitcnt lgkmcnt(0)
	s_sub_i32 s38, s3, s9
	s_andn2_b64 vcc, exec, s[6:7]
	s_cbranch_vccnz .LBB3_7
.LBB3_9:
	s_ashr_i32 s3, s2, 31
	s_lshl_b64 s[12:13], s[2:3], 2
	s_add_u32 s10, s10, s12
	s_addc_u32 s11, s11, s13
	s_load_dword s3, s[10:11], 0x4
	s_waitcnt lgkmcnt(0)
	s_sub_i32 s33, s3, s9
	s_load_dword s39, s[0:1], 0x40
	s_waitcnt lgkmcnt(0)
	s_cmp_lt_i32 s39, 1
	s_cbranch_scc1 .LBB3_54
.LBB3_10:
	s_load_dwordx4 s[12:15], s[0:1], 0x68
	s_load_dwordx4 s[16:19], s[0:1], 0x30
	s_load_dwordx4 s[20:23], s[0:1], 0x48
	v_and_b32_e32 v1, 0x3ff, v0
	v_bfe_u32 v0, v0, 10, 10
	s_bitcmp1_b32 s24, 0
	s_cselect_b64 s[0:1], -1, 0
	v_lshl_add_u32 v12, s4, 5, v0
	s_xor_b64 s[10:11], s[0:1], -1
	v_ashrrev_i32_e32 v13, 31, v12
	s_mul_i32 s40, s39, s2
	s_cmp_lt_i32 s38, s33
	s_waitcnt lgkmcnt(0)
	v_mul_lo_u32 v14, s22, v13
	v_mul_lo_u32 v15, s23, v12
	v_mad_u64_u32 v[8:9], s[2:3], s22, v12, 0
	s_cselect_b64 s[4:5], -1, 0
	v_cmp_gt_i32_e64 s[0:1], s27, v12
	v_lshlrev_b64 v[10:11], 3, v[12:13]
	v_add3_u32 v9, v9, v14, v15
	s_cmp_lg_u32 s25, 0
	v_lshl_add_u64 v[6:7], s[20:21], 0, v[10:11]
	v_lshl_add_u64 v[8:9], v[8:9], 3, s[20:21]
	s_cselect_b64 s[20:21], -1, 0
	s_and_b64 s[24:25], s[6:7], s[0:1]
	v_mul_lo_u32 v14, s14, v13
	v_mul_lo_u32 v15, s15, v12
	v_mad_u64_u32 v[12:13], s[6:7], s14, v12, 0
	s_mul_i32 s6, s38, s39
	v_add3_u32 v13, v13, v14, v15
	v_add_u32_e32 v14, s6, v1
	v_lshlrev_b32_e32 v24, 3, v1
	v_mad_u64_u32 v[14:15], s[6:7], s39, v14, v[0:1]
	v_or_b32_e32 v16, 0x2000, v24
	v_lshlrev_b32_e32 v25, 8, v0
	s_cmp_lg_u32 s8, 1
	v_cndmask_b32_e64 v15, 0, 1, s[4:5]
	s_mov_b32 s41, 0
	v_cmp_neq_f64_e64 s[2:3], 0, v[4:5]
	s_cselect_b64 s[26:27], -1, 0
	v_lshl_add_u64 v[10:11], s[12:13], 0, v[10:11]
	v_lshl_add_u64 v[12:13], v[12:13], 3, s[12:13]
	s_lshl_b32 s8, s39, 5
	s_mul_i32 s42, s39, s39
	v_cmp_ne_u32_e64 s[4:5], 1, v15
	v_add_u32_e32 v15, v16, v25
	v_add_u32_e32 v26, v24, v25
	;; [unrolled: 1-line block ×5, first 2 shown]
	s_branch .LBB3_12
.LBB3_11:                               ;   in Loop: Header=BB3_12 Depth=1
	s_or_b64 exec, exec, s[6:7]
	s_add_i32 s41, s41, 32
	s_cmp_lt_i32 s41, s39
	v_add_u32_e32 v14, s8, v14
	s_cbranch_scc0 .LBB3_54
.LBB3_12:                               ; =>This Loop Header: Depth=1
                                        ;     Child Loop BB3_15 Depth 2
                                        ;       Child Loop BB3_17 Depth 3
	v_add_u32_e32 v18, s41, v1
	v_mov_b64_e32 v[16:17], 0
	s_and_b64 vcc, exec, s[4:5]
	v_cmp_gt_i32_e64 s[6:7], s39, v18
	s_cbranch_vccnz .LBB3_43
; %bb.13:                               ;   in Loop: Header=BB3_12 Depth=1
	v_mov_b64_e32 v[16:17], 0
	v_mov_b32_e32 v19, v14
	s_mov_b32 s12, s38
	s_branch .LBB3_15
.LBB3_14:                               ;   in Loop: Header=BB3_15 Depth=2
	s_add_i32 s12, s12, 1
	s_cmp_ge_i32 s12, s33
	v_add_u32_e32 v19, s42, v19
	s_cbranch_scc1 .LBB3_43
.LBB3_15:                               ;   Parent Loop BB3_12 Depth=1
                                        ; =>  This Loop Header: Depth=2
                                        ;       Child Loop BB3_17 Depth 3
	s_ashr_i32 s13, s12, 31
	s_lshl_b64 s[28:29], s[12:13], 2
	s_add_u32 s28, s16, s28
	s_addc_u32 s29, s17, s29
	s_load_dword s28, s[28:29], 0x0
	s_mul_i32 s13, s12, s39
	s_mov_b32 s43, 0
	s_waitcnt lgkmcnt(0)
	s_sub_i32 s28, s28, s9
	s_mul_i32 s28, s28, s39
	v_add_u32_e32 v30, s28, v1
	s_branch .LBB3_17
.LBB3_16:                               ;   in Loop: Header=BB3_17 Depth=3
	s_or_b64 exec, exec, s[30:31]
	s_waitcnt vmcnt(0)
	ds_write_b64 v26, v[22:23]
	s_waitcnt lgkmcnt(0)
	s_barrier
	ds_read2_b64 v[20:23], v24 offset1:32
	ds_read_b128 v[32:35], v25 offset:8192
	ds_read_b128 v[36:39], v25 offset:8208
	ds_read2_b64 v[40:43], v24 offset0:64 offset1:96
	ds_read_b128 v[44:47], v25 offset:8224
	ds_read_b128 v[48:51], v25 offset:8240
	ds_read2_b64 v[52:55], v24 offset0:128 offset1:160
	s_waitcnt lgkmcnt(5)
	v_fmac_f64_e32 v[16:17], v[20:21], v[32:33]
	v_fmac_f64_e32 v[16:17], v[22:23], v[34:35]
	ds_read2_b64 v[20:23], v24 offset0:192 offset1:224
	s_waitcnt lgkmcnt(4)
	v_fmac_f64_e32 v[16:17], v[40:41], v[36:37]
	v_fmac_f64_e32 v[16:17], v[42:43], v[38:39]
	s_waitcnt lgkmcnt(1)
	v_fmac_f64_e32 v[16:17], v[52:53], v[44:45]
	v_fmac_f64_e32 v[16:17], v[54:55], v[46:47]
	ds_read2_b64 v[32:35], v27 offset1:32
	ds_read_b128 v[36:39], v25 offset:8256
	s_waitcnt lgkmcnt(2)
	v_fmac_f64_e32 v[16:17], v[20:21], v[48:49]
	v_fmac_f64_e32 v[16:17], v[22:23], v[50:51]
	ds_read2_b64 v[20:23], v27 offset0:64 offset1:96
	ds_read_b128 v[40:43], v25 offset:8272
	s_add_i32 s43, s43, 32
	s_waitcnt lgkmcnt(2)
	v_fmac_f64_e32 v[16:17], v[32:33], v[36:37]
	v_fmac_f64_e32 v[16:17], v[34:35], v[38:39]
	ds_read2_b64 v[32:35], v27 offset0:128 offset1:160
	ds_read_b128 v[36:39], v25 offset:8288
	s_waitcnt lgkmcnt(2)
	v_fmac_f64_e32 v[16:17], v[20:21], v[40:41]
	v_fmac_f64_e32 v[16:17], v[22:23], v[42:43]
	ds_read2_b64 v[20:23], v27 offset0:192 offset1:224
	ds_read_b128 v[40:43], v25 offset:8304
	s_cmp_ge_i32 s43, s39
	s_waitcnt lgkmcnt(2)
	v_fmac_f64_e32 v[16:17], v[32:33], v[36:37]
	v_fmac_f64_e32 v[16:17], v[34:35], v[38:39]
	ds_read2_b64 v[32:35], v28 offset1:32
	ds_read_b128 v[36:39], v25 offset:8320
	s_waitcnt lgkmcnt(2)
	v_fmac_f64_e32 v[16:17], v[20:21], v[40:41]
	v_fmac_f64_e32 v[16:17], v[22:23], v[42:43]
	ds_read2_b64 v[20:23], v28 offset0:64 offset1:96
	ds_read_b128 v[40:43], v25 offset:8336
	s_waitcnt lgkmcnt(2)
	v_fmac_f64_e32 v[16:17], v[32:33], v[36:37]
	v_fmac_f64_e32 v[16:17], v[34:35], v[38:39]
	ds_read2_b64 v[32:35], v28 offset0:128 offset1:160
	;; [unrolled: 5-line block ×3, first 2 shown]
	ds_read_b128 v[40:43], v25 offset:8368
	ds_read2_b64 v[44:47], v29 offset1:32
	ds_read_b128 v[48:51], v25 offset:8384
	s_waitcnt lgkmcnt(4)
	v_fmac_f64_e32 v[16:17], v[32:33], v[36:37]
	v_fmac_f64_e32 v[16:17], v[34:35], v[38:39]
	s_waitcnt lgkmcnt(2)
	v_fmac_f64_e32 v[16:17], v[20:21], v[40:41]
	v_fmac_f64_e32 v[16:17], v[22:23], v[42:43]
	ds_read_b128 v[20:23], v25 offset:8400
	s_waitcnt lgkmcnt(1)
	v_fmac_f64_e32 v[16:17], v[44:45], v[48:49]
	v_fmac_f64_e32 v[16:17], v[46:47], v[50:51]
	ds_read2_b64 v[32:35], v29 offset0:64 offset1:96
	ds_read2_b64 v[36:39], v29 offset0:128 offset1:160
	ds_read_b128 v[40:43], v25 offset:8416
	ds_read2_b64 v[44:47], v29 offset0:192 offset1:224
	ds_read_b128 v[48:51], v25 offset:8432
	s_waitcnt lgkmcnt(0)
	v_fmac_f64_e32 v[16:17], v[32:33], v[20:21]
	v_fmac_f64_e32 v[16:17], v[34:35], v[22:23]
	;; [unrolled: 1-line block ×6, first 2 shown]
	s_barrier
	s_cbranch_scc1 .LBB3_14
.LBB3_17:                               ;   Parent Loop BB3_12 Depth=1
                                        ;     Parent Loop BB3_15 Depth=2
                                        ; =>    This Inner Loop Header: Depth=3
	s_mov_b64 s[28:29], -1
	s_and_b64 vcc, exec, s[10:11]
                                        ; implicit-def: $vgpr20_vgpr21
	s_cbranch_vccnz .LBB3_26
; %bb.18:                               ;   in Loop: Header=BB3_17 Depth=3
	s_andn2_b64 vcc, exec, s[28:29]
	s_cbranch_vccz .LBB3_31
.LBB3_19:                               ;   in Loop: Header=BB3_17 Depth=3
	s_and_b64 vcc, exec, s[20:21]
	s_waitcnt vmcnt(0)
	ds_write_b64 v15, v[20:21]
	s_cbranch_vccz .LBB3_36
.LBB3_20:                               ;   in Loop: Header=BB3_17 Depth=3
	s_mov_b64 s[30:31], 0
	s_mov_b64 s[28:29], 0
                                        ; implicit-def: $vgpr20
	s_and_saveexec_b64 s[34:35], s[6:7]
	s_cbranch_execz .LBB3_24
; %bb.21:                               ;   in Loop: Header=BB3_17 Depth=3
	v_add_u32_e32 v21, s43, v0
	v_cmp_gt_i32_e32 vcc, s39, v21
                                        ; implicit-def: $vgpr20
	s_and_saveexec_b64 s[36:37], vcc
	s_xor_b64 s[36:37], exec, s[36:37]
; %bb.22:                               ;   in Loop: Header=BB3_17 Depth=3
	v_add_u32_e32 v20, s13, v21
	s_mov_b64 s[28:29], exec
	v_mad_u64_u32 v[20:21], s[44:45], v20, s39, v[18:19]
; %bb.23:                               ;   in Loop: Header=BB3_17 Depth=3
	s_or_b64 exec, exec, s[36:37]
	s_and_b64 s[28:29], s[28:29], exec
.LBB3_24:                               ;   in Loop: Header=BB3_17 Depth=3
	s_or_b64 exec, exec, s[34:35]
	s_and_b64 vcc, exec, s[30:31]
	s_cbranch_vccnz .LBB3_37
.LBB3_25:                               ;   in Loop: Header=BB3_17 Depth=3
	v_mov_b64_e32 v[22:23], 0
	s_and_saveexec_b64 s[30:31], s[28:29]
	s_cbranch_execz .LBB3_16
	s_branch .LBB3_42
.LBB3_26:                               ;   in Loop: Header=BB3_17 Depth=3
	v_mov_b64_e32 v[20:21], 0
	s_and_saveexec_b64 s[28:29], s[0:1]
	s_cbranch_execz .LBB3_30
; %bb.27:                               ;   in Loop: Header=BB3_17 Depth=3
	v_add_u32_e32 v20, s43, v1
	v_cmp_gt_i32_e32 vcc, s39, v20
	v_mov_b64_e32 v[20:21], 0
	s_and_saveexec_b64 s[30:31], vcc
	s_cbranch_execz .LBB3_29
; %bb.28:                               ;   in Loop: Header=BB3_17 Depth=3
	v_add_u32_e32 v20, s43, v30
	v_ashrrev_i32_e32 v21, 31, v20
	v_mul_lo_u32 v22, s22, v21
	v_mul_lo_u32 v23, s23, v20
	v_mad_u64_u32 v[20:21], s[34:35], s22, v20, 0
	v_add3_u32 v21, v21, v22, v23
	v_lshl_add_u64 v[20:21], v[20:21], 3, v[6:7]
	global_load_dwordx2 v[20:21], v[20:21], off
.LBB3_29:                               ;   in Loop: Header=BB3_17 Depth=3
	s_or_b64 exec, exec, s[30:31]
.LBB3_30:                               ;   in Loop: Header=BB3_17 Depth=3
	s_or_b64 exec, exec, s[28:29]
	s_cbranch_execnz .LBB3_19
.LBB3_31:                               ;   in Loop: Header=BB3_17 Depth=3
	s_waitcnt vmcnt(0)
	v_mov_b64_e32 v[20:21], 0
	s_and_saveexec_b64 s[28:29], s[0:1]
	s_cbranch_execz .LBB3_35
; %bb.32:                               ;   in Loop: Header=BB3_17 Depth=3
	v_add_u32_e32 v20, s43, v1
	v_cmp_gt_i32_e32 vcc, s39, v20
	v_mov_b64_e32 v[20:21], 0
	s_and_saveexec_b64 s[30:31], vcc
	s_cbranch_execz .LBB3_34
; %bb.33:                               ;   in Loop: Header=BB3_17 Depth=3
	v_add_u32_e32 v20, s43, v30
	v_ashrrev_i32_e32 v21, 31, v20
	v_lshl_add_u64 v[20:21], v[20:21], 3, v[8:9]
	global_load_dwordx2 v[20:21], v[20:21], off
.LBB3_34:                               ;   in Loop: Header=BB3_17 Depth=3
	s_or_b64 exec, exec, s[30:31]
.LBB3_35:                               ;   in Loop: Header=BB3_17 Depth=3
	s_or_b64 exec, exec, s[28:29]
	s_and_b64 vcc, exec, s[20:21]
	s_waitcnt vmcnt(0)
	ds_write_b64 v15, v[20:21]
	s_cbranch_vccnz .LBB3_20
.LBB3_36:                               ;   in Loop: Header=BB3_17 Depth=3
	s_mov_b64 s[28:29], 0
                                        ; implicit-def: $vgpr20
	s_cbranch_execz .LBB3_25
.LBB3_37:                               ;   in Loop: Header=BB3_17 Depth=3
                                        ; implicit-def: $vgpr20
	s_and_saveexec_b64 s[30:31], s[6:7]
	s_cbranch_execz .LBB3_41
; %bb.38:                               ;   in Loop: Header=BB3_17 Depth=3
	v_add_u32_e32 v20, s43, v0
	v_cmp_gt_i32_e32 vcc, s39, v20
	s_mov_b64 s[34:35], s[28:29]
                                        ; implicit-def: $vgpr20
	s_and_saveexec_b64 s[36:37], vcc
; %bb.39:                               ;   in Loop: Header=BB3_17 Depth=3
	v_add_u32_e32 v20, s43, v19
	s_or_b64 s[34:35], s[28:29], exec
; %bb.40:                               ;   in Loop: Header=BB3_17 Depth=3
	s_or_b64 exec, exec, s[36:37]
	s_andn2_b64 s[28:29], s[28:29], exec
	s_and_b64 s[34:35], s[34:35], exec
	s_or_b64 s[28:29], s[28:29], s[34:35]
.LBB3_41:                               ;   in Loop: Header=BB3_17 Depth=3
	s_or_b64 exec, exec, s[30:31]
	v_mov_b64_e32 v[22:23], 0
	s_and_saveexec_b64 s[30:31], s[28:29]
	s_cbranch_execz .LBB3_16
.LBB3_42:                               ;   in Loop: Header=BB3_17 Depth=3
	v_ashrrev_i32_e32 v21, 31, v20
	v_lshl_add_u64 v[20:21], v[20:21], 3, s[18:19]
	global_load_dwordx2 v[22:23], v[20:21], off
	s_branch .LBB3_16
.LBB3_43:                               ;   in Loop: Header=BB3_12 Depth=1
	v_cmp_gt_i32_e32 vcc, s39, v18
	s_and_b64 s[12:13], s[24:25], vcc
	s_and_saveexec_b64 s[6:7], s[12:13]
	s_cbranch_execz .LBB3_11
; %bb.44:                               ;   in Loop: Header=BB3_12 Depth=1
	v_add_u32_e32 v18, s40, v18
	v_ashrrev_i32_e32 v19, 31, v18
	s_and_saveexec_b64 s[12:13], s[2:3]
	s_xor_b64 s[12:13], exec, s[12:13]
	s_cbranch_execz .LBB3_49
; %bb.45:                               ;   in Loop: Header=BB3_12 Depth=1
	s_mov_b64 s[28:29], -1
	s_and_b64 vcc, exec, s[26:27]
	s_cbranch_vccz .LBB3_47
; %bb.46:                               ;   in Loop: Header=BB3_12 Depth=1
	v_mul_lo_u32 v22, s15, v18
	v_mul_lo_u32 v23, s14, v19
	v_mad_u64_u32 v[20:21], s[28:29], s14, v18, 0
	v_add3_u32 v21, v21, v23, v22
	v_lshl_add_u64 v[20:21], v[20:21], 3, v[10:11]
	global_load_dwordx2 v[22:23], v[20:21], off
	v_mul_f64 v[30:31], v[2:3], v[16:17]
	s_mov_b64 s[28:29], 0
	s_waitcnt vmcnt(0)
	v_fmac_f64_e32 v[30:31], v[4:5], v[22:23]
	global_store_dwordx2 v[20:21], v[30:31], off
.LBB3_47:                               ;   in Loop: Header=BB3_12 Depth=1
	s_andn2_b64 vcc, exec, s[28:29]
	s_cbranch_vccnz .LBB3_49
; %bb.48:                               ;   in Loop: Header=BB3_12 Depth=1
	v_lshl_add_u64 v[18:19], v[18:19], 3, v[12:13]
	global_load_dwordx2 v[20:21], v[18:19], off
	v_mul_f64 v[16:17], v[2:3], v[16:17]
	s_waitcnt vmcnt(0)
	v_fmac_f64_e32 v[16:17], v[4:5], v[20:21]
	global_store_dwordx2 v[18:19], v[16:17], off
                                        ; implicit-def: $vgpr16_vgpr17
                                        ; implicit-def: $vgpr18
.LBB3_49:                               ;   in Loop: Header=BB3_12 Depth=1
	s_andn2_saveexec_b64 s[12:13], s[12:13]
	s_cbranch_execz .LBB3_11
; %bb.50:                               ;   in Loop: Header=BB3_12 Depth=1
	v_mul_f64 v[16:17], v[2:3], v[16:17]
	s_mov_b64 s[12:13], -1
	s_and_b64 vcc, exec, s[26:27]
	s_cbranch_vccz .LBB3_52
; %bb.51:                               ;   in Loop: Header=BB3_12 Depth=1
	v_mul_lo_u32 v22, s15, v18
	v_mul_lo_u32 v23, s14, v19
	v_mad_u64_u32 v[20:21], s[12:13], s14, v18, 0
	v_add3_u32 v21, v21, v23, v22
	v_lshl_add_u64 v[20:21], v[20:21], 3, v[10:11]
	global_store_dwordx2 v[20:21], v[16:17], off
	s_mov_b64 s[12:13], 0
.LBB3_52:                               ;   in Loop: Header=BB3_12 Depth=1
	s_andn2_b64 vcc, exec, s[12:13]
	s_cbranch_vccnz .LBB3_11
; %bb.53:                               ;   in Loop: Header=BB3_12 Depth=1
	v_lshl_add_u64 v[18:19], v[18:19], 3, v[12:13]
	global_store_dwordx2 v[18:19], v[16:17], off
	s_branch .LBB3_11
.LBB3_54:
	s_endpgm
	.section	.rodata,"a",@progbits
	.p2align	6, 0x0
	.amdhsa_kernel _ZN9rocsparseL29bsrmm_general_blockdim_kernelILj32ELj32EiiddddEEvb20rocsparse_direction_T2_S2_llNS_24const_host_device_scalarIT6_EEPKT1_PKS2_PKT3_S2_PKT4_llS5_PT5_ll16rocsparse_order_21rocsparse_index_base_b
		.amdhsa_group_segment_fixed_size 16384
		.amdhsa_private_segment_fixed_size 0
		.amdhsa_kernarg_size 140
		.amdhsa_user_sgpr_count 2
		.amdhsa_user_sgpr_dispatch_ptr 0
		.amdhsa_user_sgpr_queue_ptr 0
		.amdhsa_user_sgpr_kernarg_segment_ptr 1
		.amdhsa_user_sgpr_dispatch_id 0
		.amdhsa_user_sgpr_kernarg_preload_length 0
		.amdhsa_user_sgpr_kernarg_preload_offset 0
		.amdhsa_user_sgpr_private_segment_size 0
		.amdhsa_uses_dynamic_stack 0
		.amdhsa_enable_private_segment 0
		.amdhsa_system_sgpr_workgroup_id_x 1
		.amdhsa_system_sgpr_workgroup_id_y 1
		.amdhsa_system_sgpr_workgroup_id_z 0
		.amdhsa_system_sgpr_workgroup_info 0
		.amdhsa_system_vgpr_workitem_id 1
		.amdhsa_next_free_vgpr 56
		.amdhsa_next_free_sgpr 46
		.amdhsa_accum_offset 56
		.amdhsa_reserve_vcc 1
		.amdhsa_float_round_mode_32 0
		.amdhsa_float_round_mode_16_64 0
		.amdhsa_float_denorm_mode_32 3
		.amdhsa_float_denorm_mode_16_64 3
		.amdhsa_dx10_clamp 1
		.amdhsa_ieee_mode 1
		.amdhsa_fp16_overflow 0
		.amdhsa_tg_split 0
		.amdhsa_exception_fp_ieee_invalid_op 0
		.amdhsa_exception_fp_denorm_src 0
		.amdhsa_exception_fp_ieee_div_zero 0
		.amdhsa_exception_fp_ieee_overflow 0
		.amdhsa_exception_fp_ieee_underflow 0
		.amdhsa_exception_fp_ieee_inexact 0
		.amdhsa_exception_int_div_zero 0
	.end_amdhsa_kernel
	.section	.text._ZN9rocsparseL29bsrmm_general_blockdim_kernelILj32ELj32EiiddddEEvb20rocsparse_direction_T2_S2_llNS_24const_host_device_scalarIT6_EEPKT1_PKS2_PKT3_S2_PKT4_llS5_PT5_ll16rocsparse_order_21rocsparse_index_base_b,"axG",@progbits,_ZN9rocsparseL29bsrmm_general_blockdim_kernelILj32ELj32EiiddddEEvb20rocsparse_direction_T2_S2_llNS_24const_host_device_scalarIT6_EEPKT1_PKS2_PKT3_S2_PKT4_llS5_PT5_ll16rocsparse_order_21rocsparse_index_base_b,comdat
.Lfunc_end3:
	.size	_ZN9rocsparseL29bsrmm_general_blockdim_kernelILj32ELj32EiiddddEEvb20rocsparse_direction_T2_S2_llNS_24const_host_device_scalarIT6_EEPKT1_PKS2_PKT3_S2_PKT4_llS5_PT5_ll16rocsparse_order_21rocsparse_index_base_b, .Lfunc_end3-_ZN9rocsparseL29bsrmm_general_blockdim_kernelILj32ELj32EiiddddEEvb20rocsparse_direction_T2_S2_llNS_24const_host_device_scalarIT6_EEPKT1_PKS2_PKT3_S2_PKT4_llS5_PT5_ll16rocsparse_order_21rocsparse_index_base_b
                                        ; -- End function
	.set _ZN9rocsparseL29bsrmm_general_blockdim_kernelILj32ELj32EiiddddEEvb20rocsparse_direction_T2_S2_llNS_24const_host_device_scalarIT6_EEPKT1_PKS2_PKT3_S2_PKT4_llS5_PT5_ll16rocsparse_order_21rocsparse_index_base_b.num_vgpr, 56
	.set _ZN9rocsparseL29bsrmm_general_blockdim_kernelILj32ELj32EiiddddEEvb20rocsparse_direction_T2_S2_llNS_24const_host_device_scalarIT6_EEPKT1_PKS2_PKT3_S2_PKT4_llS5_PT5_ll16rocsparse_order_21rocsparse_index_base_b.num_agpr, 0
	.set _ZN9rocsparseL29bsrmm_general_blockdim_kernelILj32ELj32EiiddddEEvb20rocsparse_direction_T2_S2_llNS_24const_host_device_scalarIT6_EEPKT1_PKS2_PKT3_S2_PKT4_llS5_PT5_ll16rocsparse_order_21rocsparse_index_base_b.numbered_sgpr, 46
	.set _ZN9rocsparseL29bsrmm_general_blockdim_kernelILj32ELj32EiiddddEEvb20rocsparse_direction_T2_S2_llNS_24const_host_device_scalarIT6_EEPKT1_PKS2_PKT3_S2_PKT4_llS5_PT5_ll16rocsparse_order_21rocsparse_index_base_b.num_named_barrier, 0
	.set _ZN9rocsparseL29bsrmm_general_blockdim_kernelILj32ELj32EiiddddEEvb20rocsparse_direction_T2_S2_llNS_24const_host_device_scalarIT6_EEPKT1_PKS2_PKT3_S2_PKT4_llS5_PT5_ll16rocsparse_order_21rocsparse_index_base_b.private_seg_size, 0
	.set _ZN9rocsparseL29bsrmm_general_blockdim_kernelILj32ELj32EiiddddEEvb20rocsparse_direction_T2_S2_llNS_24const_host_device_scalarIT6_EEPKT1_PKS2_PKT3_S2_PKT4_llS5_PT5_ll16rocsparse_order_21rocsparse_index_base_b.uses_vcc, 1
	.set _ZN9rocsparseL29bsrmm_general_blockdim_kernelILj32ELj32EiiddddEEvb20rocsparse_direction_T2_S2_llNS_24const_host_device_scalarIT6_EEPKT1_PKS2_PKT3_S2_PKT4_llS5_PT5_ll16rocsparse_order_21rocsparse_index_base_b.uses_flat_scratch, 0
	.set _ZN9rocsparseL29bsrmm_general_blockdim_kernelILj32ELj32EiiddddEEvb20rocsparse_direction_T2_S2_llNS_24const_host_device_scalarIT6_EEPKT1_PKS2_PKT3_S2_PKT4_llS5_PT5_ll16rocsparse_order_21rocsparse_index_base_b.has_dyn_sized_stack, 0
	.set _ZN9rocsparseL29bsrmm_general_blockdim_kernelILj32ELj32EiiddddEEvb20rocsparse_direction_T2_S2_llNS_24const_host_device_scalarIT6_EEPKT1_PKS2_PKT3_S2_PKT4_llS5_PT5_ll16rocsparse_order_21rocsparse_index_base_b.has_recursion, 0
	.set _ZN9rocsparseL29bsrmm_general_blockdim_kernelILj32ELj32EiiddddEEvb20rocsparse_direction_T2_S2_llNS_24const_host_device_scalarIT6_EEPKT1_PKS2_PKT3_S2_PKT4_llS5_PT5_ll16rocsparse_order_21rocsparse_index_base_b.has_indirect_call, 0
	.section	.AMDGPU.csdata,"",@progbits
; Kernel info:
; codeLenInByte = 1904
; TotalNumSgprs: 52
; NumVgprs: 56
; NumAgprs: 0
; TotalNumVgprs: 56
; ScratchSize: 0
; MemoryBound: 0
; FloatMode: 240
; IeeeMode: 1
; LDSByteSize: 16384 bytes/workgroup (compile time only)
; SGPRBlocks: 6
; VGPRBlocks: 6
; NumSGPRsForWavesPerEU: 52
; NumVGPRsForWavesPerEU: 56
; AccumOffset: 56
; Occupancy: 8
; WaveLimiterHint : 1
; COMPUTE_PGM_RSRC2:SCRATCH_EN: 0
; COMPUTE_PGM_RSRC2:USER_SGPR: 2
; COMPUTE_PGM_RSRC2:TRAP_HANDLER: 0
; COMPUTE_PGM_RSRC2:TGID_X_EN: 1
; COMPUTE_PGM_RSRC2:TGID_Y_EN: 1
; COMPUTE_PGM_RSRC2:TGID_Z_EN: 0
; COMPUTE_PGM_RSRC2:TIDIG_COMP_CNT: 1
; COMPUTE_PGM_RSRC3_GFX90A:ACCUM_OFFSET: 13
; COMPUTE_PGM_RSRC3_GFX90A:TG_SPLIT: 0
	.section	.text._ZN9rocsparseL29bsrmm_general_blockdim_kernelILj32ELj32EliddddEEvb20rocsparse_direction_T2_S2_llNS_24const_host_device_scalarIT6_EEPKT1_PKS2_PKT3_S2_PKT4_llS5_PT5_ll16rocsparse_order_21rocsparse_index_base_b,"axG",@progbits,_ZN9rocsparseL29bsrmm_general_blockdim_kernelILj32ELj32EliddddEEvb20rocsparse_direction_T2_S2_llNS_24const_host_device_scalarIT6_EEPKT1_PKS2_PKT3_S2_PKT4_llS5_PT5_ll16rocsparse_order_21rocsparse_index_base_b,comdat
	.globl	_ZN9rocsparseL29bsrmm_general_blockdim_kernelILj32ELj32EliddddEEvb20rocsparse_direction_T2_S2_llNS_24const_host_device_scalarIT6_EEPKT1_PKS2_PKT3_S2_PKT4_llS5_PT5_ll16rocsparse_order_21rocsparse_index_base_b ; -- Begin function _ZN9rocsparseL29bsrmm_general_blockdim_kernelILj32ELj32EliddddEEvb20rocsparse_direction_T2_S2_llNS_24const_host_device_scalarIT6_EEPKT1_PKS2_PKT3_S2_PKT4_llS5_PT5_ll16rocsparse_order_21rocsparse_index_base_b
	.p2align	8
	.type	_ZN9rocsparseL29bsrmm_general_blockdim_kernelILj32ELj32EliddddEEvb20rocsparse_direction_T2_S2_llNS_24const_host_device_scalarIT6_EEPKT1_PKS2_PKT3_S2_PKT4_llS5_PT5_ll16rocsparse_order_21rocsparse_index_base_b,@function
_ZN9rocsparseL29bsrmm_general_blockdim_kernelILj32ELj32EliddddEEvb20rocsparse_direction_T2_S2_llNS_24const_host_device_scalarIT6_EEPKT1_PKS2_PKT3_S2_PKT4_llS5_PT5_ll16rocsparse_order_21rocsparse_index_base_b: ; @_ZN9rocsparseL29bsrmm_general_blockdim_kernelILj32ELj32EliddddEEvb20rocsparse_direction_T2_S2_llNS_24const_host_device_scalarIT6_EEPKT1_PKS2_PKT3_S2_PKT4_llS5_PT5_ll16rocsparse_order_21rocsparse_index_base_b
; %bb.0:
	s_load_dwordx4 s[8:11], s[0:1], 0x80
	s_load_dwordx2 s[12:13], s[0:1], 0x20
	s_load_dwordx2 s[6:7], s[0:1], 0x60
	s_mov_b32 s4, s3
	s_waitcnt lgkmcnt(0)
	s_bitcmp1_b32 s10, 0
	s_cselect_b64 s[14:15], -1, 0
	s_xor_b64 s[10:11], s[14:15], -1
	s_and_b64 vcc, exec, s[14:15]
	v_mov_b64_e32 v[2:3], s[12:13]
	s_cbranch_vccnz .LBB4_2
; %bb.1:
	v_mov_b64_e32 v[2:3], s[12:13]
	flat_load_dwordx2 v[2:3], v[2:3]
.LBB4_2:
	s_andn2_b64 vcc, exec, s[10:11]
	v_mov_b64_e32 v[4:5], s[6:7]
	s_cbranch_vccnz .LBB4_4
; %bb.3:
	v_mov_b64_e32 v[4:5], s[6:7]
	flat_load_dwordx2 v[4:5], v[4:5]
.LBB4_4:
	s_waitcnt vmcnt(0) lgkmcnt(0)
	v_cmp_neq_f64_e32 vcc, 0, v[2:3]
	v_cmp_neq_f64_e64 s[6:7], 1.0, v[4:5]
	s_mov_b64 s[10:11], 0
	s_or_b64 s[6:7], vcc, s[6:7]
	s_and_saveexec_b64 s[12:13], s[6:7]
	s_cbranch_execz .LBB4_50
; %bb.5:
	s_load_dwordx4 s[24:27], s[0:1], 0x0
	s_load_dwordx2 s[12:13], s[0:1], 0x28
	s_waitcnt lgkmcnt(0)
	s_cmp_lt_i32 s2, s26
	s_cselect_b64 s[6:7], -1, 0
	s_cmp_ge_i32 s2, s26
	s_cbranch_scc0 .LBB4_8
; %bb.6:
	s_andn2_b64 vcc, exec, s[6:7]
	s_mov_b64 s[28:29], 0
	s_cbranch_vccz .LBB4_9
.LBB4_7:
	s_load_dword s33, s[0:1], 0x40
	s_waitcnt lgkmcnt(0)
	s_cmp_lt_i32 s33, 1
	s_cbranch_scc0 .LBB4_10
	s_branch .LBB4_50
.LBB4_8:
	s_ashr_i32 s3, s2, 31
	s_lshl_b64 s[10:11], s[2:3], 3
	s_add_u32 s10, s12, s10
	s_addc_u32 s11, s13, s11
	s_load_dwordx2 s[10:11], s[10:11], 0x0
	s_waitcnt lgkmcnt(0)
	s_sub_u32 s10, s10, s9
	s_subb_u32 s11, s11, 0
	s_andn2_b64 vcc, exec, s[6:7]
	s_mov_b64 s[28:29], 0
	s_cbranch_vccnz .LBB4_7
.LBB4_9:
	s_ashr_i32 s3, s2, 31
	s_lshl_b64 s[14:15], s[2:3], 3
	s_add_u32 s12, s12, s14
	s_addc_u32 s13, s13, s15
	s_load_dwordx2 s[12:13], s[12:13], 0x8
	s_waitcnt lgkmcnt(0)
	s_sub_u32 s28, s12, s9
	s_subb_u32 s29, s13, 0
	s_load_dword s33, s[0:1], 0x40
	s_waitcnt lgkmcnt(0)
	s_cmp_lt_i32 s33, 1
	s_cbranch_scc1 .LBB4_50
.LBB4_10:
	s_load_dwordx4 s[12:15], s[0:1], 0x68
	s_load_dwordx4 s[16:19], s[0:1], 0x30
	;; [unrolled: 1-line block ×3, first 2 shown]
	v_bfe_u32 v21, v0, 10, 10
	s_bitcmp1_b32 s24, 0
	v_lshl_add_u32 v10, s4, 5, v21
	s_cselect_b64 s[0:1], -1, 0
	v_ashrrev_i32_e32 v11, 31, v10
	s_xor_b64 s[30:31], s[0:1], -1
	s_mul_i32 s44, s33, s2
	s_waitcnt lgkmcnt(0)
	v_mul_lo_u32 v15, s22, v11
	v_mul_lo_u32 v16, s23, v10
	v_mad_u64_u32 v[6:7], s[2:3], s22, v10, 0
	v_and_b32_e32 v20, 0x3ff, v0
	v_mov_b64_e32 v[12:13], s[28:29]
	v_cmp_gt_i32_e64 s[0:1], s27, v10
	v_lshlrev_b64 v[8:9], 3, v[10:11]
	v_add3_u32 v7, v7, v15, v16
	s_cmp_lg_u32 s25, 0
	v_lshlrev_b32_e32 v22, 3, v20
	v_lshl_add_u64 v[0:1], s[20:21], 0, v[8:9]
	v_lshl_add_u64 v[6:7], v[6:7], 3, s[20:21]
	s_cselect_b64 s[20:21], -1, 0
	s_and_b64 s[24:25], s[6:7], s[0:1]
	v_mul_lo_u32 v15, s14, v11
	v_mul_lo_u32 v16, s15, v10
	v_mad_u64_u32 v[10:11], s[4:5], s14, v10, 0
	v_cmp_lt_i64_e32 vcc, s[10:11], v[12:13]
	v_or_b32_e32 v14, 0x2000, v22
	v_lshlrev_b32_e32 v23, 8, v21
	s_cmp_lg_u32 s8, 1
	v_add3_u32 v11, v11, v15, v16
	v_cndmask_b32_e64 v12, 0, 1, vcc
	s_mov_b32 s45, 0
	s_mul_i32 s46, s33, s33
	v_cmp_neq_f64_e64 s[2:3], 0, v[4:5]
	s_cselect_b64 s[26:27], -1, 0
	v_lshl_add_u64 v[8:9], s[12:13], 0, v[8:9]
	v_lshl_add_u64 v[10:11], v[10:11], 3, s[12:13]
	v_cmp_ne_u32_e64 s[4:5], 1, v12
	v_add_u32_e32 v24, v14, v23
	v_add_u32_e32 v25, v22, v23
	v_add_u32_e32 v26, 0x800, v22
	v_add_u32_e32 v27, 0x1000, v22
	v_add_u32_e32 v28, 0x1800, v22
	s_branch .LBB4_12
.LBB4_11:                               ;   in Loop: Header=BB4_12 Depth=1
	s_or_b64 exec, exec, s[6:7]
	s_add_i32 s45, s45, 32
	s_cmp_lt_i32 s45, s33
	s_cbranch_scc0 .LBB4_50
.LBB4_12:                               ; =>This Loop Header: Depth=1
                                        ;     Child Loop BB4_15 Depth 2
                                        ;       Child Loop BB4_17 Depth 3
	v_add_u32_e32 v29, s45, v20
	v_mov_b64_e32 v[12:13], 0
	s_and_b64 vcc, exec, s[4:5]
	v_cmp_gt_i32_e64 s[6:7], s33, v29
	s_cbranch_vccnz .LBB4_39
; %bb.13:                               ;   in Loop: Header=BB4_12 Depth=1
	v_mul_lo_u32 v30, v29, s33
	v_mov_b64_e32 v[12:13], 0
	s_mov_b64 s[12:13], s[10:11]
	s_branch .LBB4_15
.LBB4_14:                               ;   in Loop: Header=BB4_15 Depth=2
	s_add_u32 s12, s12, 1
	s_addc_u32 s13, s13, 0
	v_mov_b64_e32 v[14:15], s[28:29]
	v_cmp_ge_i64_e32 vcc, s[12:13], v[14:15]
	s_cbranch_vccnz .LBB4_39
.LBB4_15:                               ;   Parent Loop BB4_12 Depth=1
                                        ; =>  This Loop Header: Depth=2
                                        ;       Child Loop BB4_17 Depth 3
	s_lshl_b64 s[34:35], s[12:13], 2
	s_add_u32 s34, s16, s34
	s_addc_u32 s35, s17, s35
	s_load_dword s8, s[34:35], 0x0
	s_mul_i32 s35, s13, s46
	s_mul_hi_u32 s36, s12, s46
	s_mul_i32 s34, s12, s46
	s_add_i32 s35, s36, s35
	s_waitcnt lgkmcnt(0)
	s_sub_i32 s8, s8, s9
	s_lshl_b64 s[34:35], s[34:35], 3
	s_mul_i32 s8, s8, s33
	s_add_u32 s34, s18, s34
	s_addc_u32 s35, s19, s35
	v_add_u32_e32 v31, s8, v20
	s_mov_b32 s8, 0
	s_branch .LBB4_17
.LBB4_16:                               ;   in Loop: Header=BB4_17 Depth=3
	s_or_b64 exec, exec, s[36:37]
	s_waitcnt vmcnt(0)
	ds_write_b64 v25, v[18:19]
	s_waitcnt lgkmcnt(0)
	s_barrier
	ds_read2_b64 v[14:17], v22 offset1:32
	ds_read_b128 v[32:35], v23 offset:8192
	ds_read_b128 v[36:39], v23 offset:8208
	ds_read2_b64 v[40:43], v22 offset0:64 offset1:96
	ds_read_b128 v[44:47], v23 offset:8224
	ds_read_b128 v[48:51], v23 offset:8240
	ds_read2_b64 v[52:55], v22 offset0:128 offset1:160
	s_waitcnt lgkmcnt(5)
	v_fmac_f64_e32 v[12:13], v[14:15], v[32:33]
	v_fmac_f64_e32 v[12:13], v[16:17], v[34:35]
	ds_read2_b64 v[14:17], v22 offset0:192 offset1:224
	s_waitcnt lgkmcnt(4)
	v_fmac_f64_e32 v[12:13], v[40:41], v[36:37]
	v_fmac_f64_e32 v[12:13], v[42:43], v[38:39]
	s_waitcnt lgkmcnt(1)
	v_fmac_f64_e32 v[12:13], v[52:53], v[44:45]
	v_fmac_f64_e32 v[12:13], v[54:55], v[46:47]
	ds_read2_b64 v[32:35], v26 offset1:32
	ds_read_b128 v[36:39], v23 offset:8256
	s_waitcnt lgkmcnt(2)
	v_fmac_f64_e32 v[12:13], v[14:15], v[48:49]
	v_fmac_f64_e32 v[12:13], v[16:17], v[50:51]
	ds_read2_b64 v[14:17], v26 offset0:64 offset1:96
	ds_read_b128 v[40:43], v23 offset:8272
	s_add_i32 s8, s8, 32
	s_waitcnt lgkmcnt(2)
	v_fmac_f64_e32 v[12:13], v[32:33], v[36:37]
	v_fmac_f64_e32 v[12:13], v[34:35], v[38:39]
	ds_read2_b64 v[32:35], v26 offset0:128 offset1:160
	ds_read_b128 v[36:39], v23 offset:8288
	s_waitcnt lgkmcnt(2)
	v_fmac_f64_e32 v[12:13], v[14:15], v[40:41]
	v_fmac_f64_e32 v[12:13], v[16:17], v[42:43]
	ds_read2_b64 v[14:17], v26 offset0:192 offset1:224
	ds_read_b128 v[40:43], v23 offset:8304
	s_cmp_ge_i32 s8, s33
	s_waitcnt lgkmcnt(2)
	v_fmac_f64_e32 v[12:13], v[32:33], v[36:37]
	v_fmac_f64_e32 v[12:13], v[34:35], v[38:39]
	ds_read2_b64 v[32:35], v27 offset1:32
	ds_read_b128 v[36:39], v23 offset:8320
	s_waitcnt lgkmcnt(2)
	v_fmac_f64_e32 v[12:13], v[14:15], v[40:41]
	v_fmac_f64_e32 v[12:13], v[16:17], v[42:43]
	ds_read2_b64 v[14:17], v27 offset0:64 offset1:96
	ds_read_b128 v[40:43], v23 offset:8336
	s_waitcnt lgkmcnt(2)
	v_fmac_f64_e32 v[12:13], v[32:33], v[36:37]
	v_fmac_f64_e32 v[12:13], v[34:35], v[38:39]
	ds_read2_b64 v[32:35], v27 offset0:128 offset1:160
	;; [unrolled: 5-line block ×3, first 2 shown]
	ds_read_b128 v[40:43], v23 offset:8368
	ds_read2_b64 v[44:47], v28 offset1:32
	ds_read_b128 v[48:51], v23 offset:8384
	s_waitcnt lgkmcnt(4)
	v_fmac_f64_e32 v[12:13], v[32:33], v[36:37]
	v_fmac_f64_e32 v[12:13], v[34:35], v[38:39]
	s_waitcnt lgkmcnt(2)
	v_fmac_f64_e32 v[12:13], v[14:15], v[40:41]
	v_fmac_f64_e32 v[12:13], v[16:17], v[42:43]
	ds_read_b128 v[14:17], v23 offset:8400
	s_waitcnt lgkmcnt(1)
	v_fmac_f64_e32 v[12:13], v[44:45], v[48:49]
	v_fmac_f64_e32 v[12:13], v[46:47], v[50:51]
	ds_read2_b64 v[32:35], v28 offset0:64 offset1:96
	ds_read2_b64 v[36:39], v28 offset0:128 offset1:160
	ds_read_b128 v[40:43], v23 offset:8416
	ds_read2_b64 v[44:47], v28 offset0:192 offset1:224
	ds_read_b128 v[48:51], v23 offset:8432
	s_waitcnt lgkmcnt(0)
	v_fmac_f64_e32 v[12:13], v[32:33], v[14:15]
	v_fmac_f64_e32 v[12:13], v[34:35], v[16:17]
	;; [unrolled: 1-line block ×6, first 2 shown]
	s_barrier
	s_cbranch_scc1 .LBB4_14
.LBB4_17:                               ;   Parent Loop BB4_12 Depth=1
                                        ;     Parent Loop BB4_15 Depth=2
                                        ; =>    This Inner Loop Header: Depth=3
	s_mov_b64 s[36:37], -1
	s_and_b64 vcc, exec, s[30:31]
                                        ; implicit-def: $vgpr14_vgpr15
	s_cbranch_vccnz .LBB4_26
; %bb.18:                               ;   in Loop: Header=BB4_17 Depth=3
	s_andn2_b64 vcc, exec, s[36:37]
	s_cbranch_vccz .LBB4_31
.LBB4_19:                               ;   in Loop: Header=BB4_17 Depth=3
	s_and_b64 vcc, exec, s[20:21]
	s_waitcnt vmcnt(0)
	ds_write_b64 v24, v[14:15]
	s_cbranch_vccz .LBB4_36
.LBB4_20:                               ;   in Loop: Header=BB4_17 Depth=3
	s_mov_b64 s[36:37], 0
	s_mov_b64 s[38:39], 0
                                        ; implicit-def: $vgpr14
	s_and_saveexec_b64 s[40:41], s[6:7]
	s_cbranch_execz .LBB4_24
; %bb.21:                               ;   in Loop: Header=BB4_17 Depth=3
	v_add_u32_e32 v15, s8, v21
	v_cmp_gt_i32_e32 vcc, s33, v15
                                        ; implicit-def: $vgpr14
	s_and_saveexec_b64 s[42:43], vcc
	s_xor_b64 s[42:43], exec, s[42:43]
; %bb.22:                               ;   in Loop: Header=BB4_17 Depth=3
	s_mov_b64 s[38:39], exec
	v_mul_lo_u32 v14, v15, s33
; %bb.23:                               ;   in Loop: Header=BB4_17 Depth=3
	s_or_b64 exec, exec, s[42:43]
	s_and_b64 s[38:39], s[38:39], exec
.LBB4_24:                               ;   in Loop: Header=BB4_17 Depth=3
	s_or_b64 exec, exec, s[40:41]
	s_and_b64 vcc, exec, s[36:37]
	s_cbranch_vccz .LBB4_37
.LBB4_25:                               ;   in Loop: Header=BB4_17 Depth=3
	v_add_u32_e32 v14, s8, v21
	v_cmp_gt_i32_e32 vcc, s33, v14
	s_and_b64 s[36:37], s[6:7], vcc
	s_andn2_b64 s[38:39], s[38:39], exec
	s_and_b64 s[36:37], s[36:37], exec
	s_or_b64 s[38:39], s[38:39], s[36:37]
	v_mov_b32_e32 v16, v30
	v_mov_b64_e32 v[18:19], 0
	s_and_saveexec_b64 s[36:37], s[38:39]
	s_cbranch_execz .LBB4_16
	s_branch .LBB4_38
.LBB4_26:                               ;   in Loop: Header=BB4_17 Depth=3
	v_mov_b64_e32 v[14:15], 0
	s_and_saveexec_b64 s[36:37], s[0:1]
	s_cbranch_execz .LBB4_30
; %bb.27:                               ;   in Loop: Header=BB4_17 Depth=3
	v_add_u32_e32 v14, s8, v20
	v_cmp_gt_i32_e32 vcc, s33, v14
	v_mov_b64_e32 v[14:15], 0
	s_and_saveexec_b64 s[38:39], vcc
	s_cbranch_execz .LBB4_29
; %bb.28:                               ;   in Loop: Header=BB4_17 Depth=3
	v_add_u32_e32 v14, s8, v31
	v_ashrrev_i32_e32 v15, 31, v14
	v_mul_lo_u32 v16, s22, v15
	v_mul_lo_u32 v17, s23, v14
	v_mad_u64_u32 v[14:15], s[40:41], s22, v14, 0
	v_add3_u32 v15, v15, v16, v17
	v_lshl_add_u64 v[14:15], v[14:15], 3, v[0:1]
	global_load_dwordx2 v[14:15], v[14:15], off
.LBB4_29:                               ;   in Loop: Header=BB4_17 Depth=3
	s_or_b64 exec, exec, s[38:39]
.LBB4_30:                               ;   in Loop: Header=BB4_17 Depth=3
	s_or_b64 exec, exec, s[36:37]
	s_cbranch_execnz .LBB4_19
.LBB4_31:                               ;   in Loop: Header=BB4_17 Depth=3
	s_waitcnt vmcnt(0)
	v_mov_b64_e32 v[14:15], 0
	s_and_saveexec_b64 s[36:37], s[0:1]
	s_cbranch_execz .LBB4_35
; %bb.32:                               ;   in Loop: Header=BB4_17 Depth=3
	v_add_u32_e32 v14, s8, v20
	v_cmp_gt_i32_e32 vcc, s33, v14
	v_mov_b64_e32 v[14:15], 0
	s_and_saveexec_b64 s[38:39], vcc
	s_cbranch_execz .LBB4_34
; %bb.33:                               ;   in Loop: Header=BB4_17 Depth=3
	v_add_u32_e32 v14, s8, v31
	v_ashrrev_i32_e32 v15, 31, v14
	v_lshl_add_u64 v[14:15], v[14:15], 3, v[6:7]
	global_load_dwordx2 v[14:15], v[14:15], off
.LBB4_34:                               ;   in Loop: Header=BB4_17 Depth=3
	s_or_b64 exec, exec, s[38:39]
.LBB4_35:                               ;   in Loop: Header=BB4_17 Depth=3
	s_or_b64 exec, exec, s[36:37]
	s_and_b64 vcc, exec, s[20:21]
	s_waitcnt vmcnt(0)
	ds_write_b64 v24, v[14:15]
	s_cbranch_vccnz .LBB4_20
.LBB4_36:                               ;   in Loop: Header=BB4_17 Depth=3
	s_mov_b64 s[38:39], 0
                                        ; implicit-def: $vgpr14
	s_cbranch_execnz .LBB4_25
.LBB4_37:                               ;   in Loop: Header=BB4_17 Depth=3
	v_mov_b32_e32 v16, v29
	v_mov_b64_e32 v[18:19], 0
	s_and_saveexec_b64 s[36:37], s[38:39]
	s_cbranch_execz .LBB4_16
.LBB4_38:                               ;   in Loop: Header=BB4_17 Depth=3
	v_ashrrev_i32_e32 v17, 31, v16
	v_lshl_add_u64 v[16:17], v[16:17], 3, s[34:35]
	v_ashrrev_i32_e32 v15, 31, v14
	v_lshl_add_u64 v[14:15], v[14:15], 3, v[16:17]
	global_load_dwordx2 v[18:19], v[14:15], off
	s_branch .LBB4_16
.LBB4_39:                               ;   in Loop: Header=BB4_12 Depth=1
	v_cmp_gt_i32_e32 vcc, s33, v29
	s_and_b64 s[12:13], s[24:25], vcc
	s_and_saveexec_b64 s[6:7], s[12:13]
	s_cbranch_execz .LBB4_11
; %bb.40:                               ;   in Loop: Header=BB4_12 Depth=1
	v_add_u32_e32 v14, s44, v29
	v_ashrrev_i32_e32 v15, 31, v14
	s_and_saveexec_b64 s[12:13], s[2:3]
	s_xor_b64 s[12:13], exec, s[12:13]
	s_cbranch_execz .LBB4_45
; %bb.41:                               ;   in Loop: Header=BB4_12 Depth=1
	s_mov_b64 s[34:35], -1
	s_and_b64 vcc, exec, s[26:27]
	s_cbranch_vccz .LBB4_43
; %bb.42:                               ;   in Loop: Header=BB4_12 Depth=1
	v_mul_lo_u32 v18, s15, v14
	v_mul_lo_u32 v19, s14, v15
	v_mad_u64_u32 v[16:17], s[34:35], s14, v14, 0
	v_add3_u32 v17, v17, v19, v18
	v_lshl_add_u64 v[16:17], v[16:17], 3, v[8:9]
	global_load_dwordx2 v[18:19], v[16:17], off
	v_mul_f64 v[30:31], v[2:3], v[12:13]
	s_mov_b64 s[34:35], 0
	s_waitcnt vmcnt(0)
	v_fmac_f64_e32 v[30:31], v[4:5], v[18:19]
	global_store_dwordx2 v[16:17], v[30:31], off
.LBB4_43:                               ;   in Loop: Header=BB4_12 Depth=1
	s_andn2_b64 vcc, exec, s[34:35]
	s_cbranch_vccnz .LBB4_45
; %bb.44:                               ;   in Loop: Header=BB4_12 Depth=1
	v_lshl_add_u64 v[14:15], v[14:15], 3, v[10:11]
	global_load_dwordx2 v[16:17], v[14:15], off
	v_mul_f64 v[12:13], v[2:3], v[12:13]
	s_waitcnt vmcnt(0)
	v_fmac_f64_e32 v[12:13], v[4:5], v[16:17]
	global_store_dwordx2 v[14:15], v[12:13], off
                                        ; implicit-def: $vgpr12_vgpr13
                                        ; implicit-def: $vgpr14
.LBB4_45:                               ;   in Loop: Header=BB4_12 Depth=1
	s_andn2_saveexec_b64 s[12:13], s[12:13]
	s_cbranch_execz .LBB4_11
; %bb.46:                               ;   in Loop: Header=BB4_12 Depth=1
	v_mul_f64 v[12:13], v[2:3], v[12:13]
	s_mov_b64 s[12:13], -1
	s_and_b64 vcc, exec, s[26:27]
	s_cbranch_vccz .LBB4_48
; %bb.47:                               ;   in Loop: Header=BB4_12 Depth=1
	v_mul_lo_u32 v18, s15, v14
	v_mul_lo_u32 v19, s14, v15
	v_mad_u64_u32 v[16:17], s[12:13], s14, v14, 0
	v_add3_u32 v17, v17, v19, v18
	v_lshl_add_u64 v[16:17], v[16:17], 3, v[8:9]
	global_store_dwordx2 v[16:17], v[12:13], off
	s_mov_b64 s[12:13], 0
.LBB4_48:                               ;   in Loop: Header=BB4_12 Depth=1
	s_andn2_b64 vcc, exec, s[12:13]
	s_cbranch_vccnz .LBB4_11
; %bb.49:                               ;   in Loop: Header=BB4_12 Depth=1
	v_lshl_add_u64 v[14:15], v[14:15], 3, v[10:11]
	global_store_dwordx2 v[14:15], v[12:13], off
	s_branch .LBB4_11
.LBB4_50:
	s_endpgm
	.section	.rodata,"a",@progbits
	.p2align	6, 0x0
	.amdhsa_kernel _ZN9rocsparseL29bsrmm_general_blockdim_kernelILj32ELj32EliddddEEvb20rocsparse_direction_T2_S2_llNS_24const_host_device_scalarIT6_EEPKT1_PKS2_PKT3_S2_PKT4_llS5_PT5_ll16rocsparse_order_21rocsparse_index_base_b
		.amdhsa_group_segment_fixed_size 16384
		.amdhsa_private_segment_fixed_size 0
		.amdhsa_kernarg_size 140
		.amdhsa_user_sgpr_count 2
		.amdhsa_user_sgpr_dispatch_ptr 0
		.amdhsa_user_sgpr_queue_ptr 0
		.amdhsa_user_sgpr_kernarg_segment_ptr 1
		.amdhsa_user_sgpr_dispatch_id 0
		.amdhsa_user_sgpr_kernarg_preload_length 0
		.amdhsa_user_sgpr_kernarg_preload_offset 0
		.amdhsa_user_sgpr_private_segment_size 0
		.amdhsa_uses_dynamic_stack 0
		.amdhsa_enable_private_segment 0
		.amdhsa_system_sgpr_workgroup_id_x 1
		.amdhsa_system_sgpr_workgroup_id_y 1
		.amdhsa_system_sgpr_workgroup_id_z 0
		.amdhsa_system_sgpr_workgroup_info 0
		.amdhsa_system_vgpr_workitem_id 1
		.amdhsa_next_free_vgpr 56
		.amdhsa_next_free_sgpr 47
		.amdhsa_accum_offset 56
		.amdhsa_reserve_vcc 1
		.amdhsa_float_round_mode_32 0
		.amdhsa_float_round_mode_16_64 0
		.amdhsa_float_denorm_mode_32 3
		.amdhsa_float_denorm_mode_16_64 3
		.amdhsa_dx10_clamp 1
		.amdhsa_ieee_mode 1
		.amdhsa_fp16_overflow 0
		.amdhsa_tg_split 0
		.amdhsa_exception_fp_ieee_invalid_op 0
		.amdhsa_exception_fp_denorm_src 0
		.amdhsa_exception_fp_ieee_div_zero 0
		.amdhsa_exception_fp_ieee_overflow 0
		.amdhsa_exception_fp_ieee_underflow 0
		.amdhsa_exception_fp_ieee_inexact 0
		.amdhsa_exception_int_div_zero 0
	.end_amdhsa_kernel
	.section	.text._ZN9rocsparseL29bsrmm_general_blockdim_kernelILj32ELj32EliddddEEvb20rocsparse_direction_T2_S2_llNS_24const_host_device_scalarIT6_EEPKT1_PKS2_PKT3_S2_PKT4_llS5_PT5_ll16rocsparse_order_21rocsparse_index_base_b,"axG",@progbits,_ZN9rocsparseL29bsrmm_general_blockdim_kernelILj32ELj32EliddddEEvb20rocsparse_direction_T2_S2_llNS_24const_host_device_scalarIT6_EEPKT1_PKS2_PKT3_S2_PKT4_llS5_PT5_ll16rocsparse_order_21rocsparse_index_base_b,comdat
.Lfunc_end4:
	.size	_ZN9rocsparseL29bsrmm_general_blockdim_kernelILj32ELj32EliddddEEvb20rocsparse_direction_T2_S2_llNS_24const_host_device_scalarIT6_EEPKT1_PKS2_PKT3_S2_PKT4_llS5_PT5_ll16rocsparse_order_21rocsparse_index_base_b, .Lfunc_end4-_ZN9rocsparseL29bsrmm_general_blockdim_kernelILj32ELj32EliddddEEvb20rocsparse_direction_T2_S2_llNS_24const_host_device_scalarIT6_EEPKT1_PKS2_PKT3_S2_PKT4_llS5_PT5_ll16rocsparse_order_21rocsparse_index_base_b
                                        ; -- End function
	.set _ZN9rocsparseL29bsrmm_general_blockdim_kernelILj32ELj32EliddddEEvb20rocsparse_direction_T2_S2_llNS_24const_host_device_scalarIT6_EEPKT1_PKS2_PKT3_S2_PKT4_llS5_PT5_ll16rocsparse_order_21rocsparse_index_base_b.num_vgpr, 56
	.set _ZN9rocsparseL29bsrmm_general_blockdim_kernelILj32ELj32EliddddEEvb20rocsparse_direction_T2_S2_llNS_24const_host_device_scalarIT6_EEPKT1_PKS2_PKT3_S2_PKT4_llS5_PT5_ll16rocsparse_order_21rocsparse_index_base_b.num_agpr, 0
	.set _ZN9rocsparseL29bsrmm_general_blockdim_kernelILj32ELj32EliddddEEvb20rocsparse_direction_T2_S2_llNS_24const_host_device_scalarIT6_EEPKT1_PKS2_PKT3_S2_PKT4_llS5_PT5_ll16rocsparse_order_21rocsparse_index_base_b.numbered_sgpr, 47
	.set _ZN9rocsparseL29bsrmm_general_blockdim_kernelILj32ELj32EliddddEEvb20rocsparse_direction_T2_S2_llNS_24const_host_device_scalarIT6_EEPKT1_PKS2_PKT3_S2_PKT4_llS5_PT5_ll16rocsparse_order_21rocsparse_index_base_b.num_named_barrier, 0
	.set _ZN9rocsparseL29bsrmm_general_blockdim_kernelILj32ELj32EliddddEEvb20rocsparse_direction_T2_S2_llNS_24const_host_device_scalarIT6_EEPKT1_PKS2_PKT3_S2_PKT4_llS5_PT5_ll16rocsparse_order_21rocsparse_index_base_b.private_seg_size, 0
	.set _ZN9rocsparseL29bsrmm_general_blockdim_kernelILj32ELj32EliddddEEvb20rocsparse_direction_T2_S2_llNS_24const_host_device_scalarIT6_EEPKT1_PKS2_PKT3_S2_PKT4_llS5_PT5_ll16rocsparse_order_21rocsparse_index_base_b.uses_vcc, 1
	.set _ZN9rocsparseL29bsrmm_general_blockdim_kernelILj32ELj32EliddddEEvb20rocsparse_direction_T2_S2_llNS_24const_host_device_scalarIT6_EEPKT1_PKS2_PKT3_S2_PKT4_llS5_PT5_ll16rocsparse_order_21rocsparse_index_base_b.uses_flat_scratch, 0
	.set _ZN9rocsparseL29bsrmm_general_blockdim_kernelILj32ELj32EliddddEEvb20rocsparse_direction_T2_S2_llNS_24const_host_device_scalarIT6_EEPKT1_PKS2_PKT3_S2_PKT4_llS5_PT5_ll16rocsparse_order_21rocsparse_index_base_b.has_dyn_sized_stack, 0
	.set _ZN9rocsparseL29bsrmm_general_blockdim_kernelILj32ELj32EliddddEEvb20rocsparse_direction_T2_S2_llNS_24const_host_device_scalarIT6_EEPKT1_PKS2_PKT3_S2_PKT4_llS5_PT5_ll16rocsparse_order_21rocsparse_index_base_b.has_recursion, 0
	.set _ZN9rocsparseL29bsrmm_general_blockdim_kernelILj32ELj32EliddddEEvb20rocsparse_direction_T2_S2_llNS_24const_host_device_scalarIT6_EEPKT1_PKS2_PKT3_S2_PKT4_llS5_PT5_ll16rocsparse_order_21rocsparse_index_base_b.has_indirect_call, 0
	.section	.AMDGPU.csdata,"",@progbits
; Kernel info:
; codeLenInByte = 1908
; TotalNumSgprs: 53
; NumVgprs: 56
; NumAgprs: 0
; TotalNumVgprs: 56
; ScratchSize: 0
; MemoryBound: 0
; FloatMode: 240
; IeeeMode: 1
; LDSByteSize: 16384 bytes/workgroup (compile time only)
; SGPRBlocks: 6
; VGPRBlocks: 6
; NumSGPRsForWavesPerEU: 53
; NumVGPRsForWavesPerEU: 56
; AccumOffset: 56
; Occupancy: 8
; WaveLimiterHint : 1
; COMPUTE_PGM_RSRC2:SCRATCH_EN: 0
; COMPUTE_PGM_RSRC2:USER_SGPR: 2
; COMPUTE_PGM_RSRC2:TRAP_HANDLER: 0
; COMPUTE_PGM_RSRC2:TGID_X_EN: 1
; COMPUTE_PGM_RSRC2:TGID_Y_EN: 1
; COMPUTE_PGM_RSRC2:TGID_Z_EN: 0
; COMPUTE_PGM_RSRC2:TIDIG_COMP_CNT: 1
; COMPUTE_PGM_RSRC3_GFX90A:ACCUM_OFFSET: 13
; COMPUTE_PGM_RSRC3_GFX90A:TG_SPLIT: 0
	.section	.text._ZN9rocsparseL29bsrmm_general_blockdim_kernelILj32ELj32EllddddEEvb20rocsparse_direction_T2_S2_llNS_24const_host_device_scalarIT6_EEPKT1_PKS2_PKT3_S2_PKT4_llS5_PT5_ll16rocsparse_order_21rocsparse_index_base_b,"axG",@progbits,_ZN9rocsparseL29bsrmm_general_blockdim_kernelILj32ELj32EllddddEEvb20rocsparse_direction_T2_S2_llNS_24const_host_device_scalarIT6_EEPKT1_PKS2_PKT3_S2_PKT4_llS5_PT5_ll16rocsparse_order_21rocsparse_index_base_b,comdat
	.globl	_ZN9rocsparseL29bsrmm_general_blockdim_kernelILj32ELj32EllddddEEvb20rocsparse_direction_T2_S2_llNS_24const_host_device_scalarIT6_EEPKT1_PKS2_PKT3_S2_PKT4_llS5_PT5_ll16rocsparse_order_21rocsparse_index_base_b ; -- Begin function _ZN9rocsparseL29bsrmm_general_blockdim_kernelILj32ELj32EllddddEEvb20rocsparse_direction_T2_S2_llNS_24const_host_device_scalarIT6_EEPKT1_PKS2_PKT3_S2_PKT4_llS5_PT5_ll16rocsparse_order_21rocsparse_index_base_b
	.p2align	8
	.type	_ZN9rocsparseL29bsrmm_general_blockdim_kernelILj32ELj32EllddddEEvb20rocsparse_direction_T2_S2_llNS_24const_host_device_scalarIT6_EEPKT1_PKS2_PKT3_S2_PKT4_llS5_PT5_ll16rocsparse_order_21rocsparse_index_base_b,@function
_ZN9rocsparseL29bsrmm_general_blockdim_kernelILj32ELj32EllddddEEvb20rocsparse_direction_T2_S2_llNS_24const_host_device_scalarIT6_EEPKT1_PKS2_PKT3_S2_PKT4_llS5_PT5_ll16rocsparse_order_21rocsparse_index_base_b: ; @_ZN9rocsparseL29bsrmm_general_blockdim_kernelILj32ELj32EllddddEEvb20rocsparse_direction_T2_S2_llNS_24const_host_device_scalarIT6_EEPKT1_PKS2_PKT3_S2_PKT4_llS5_PT5_ll16rocsparse_order_21rocsparse_index_base_b
; %bb.0:
	s_load_dwordx4 s[16:19], s[0:1], 0x88
	s_load_dwordx2 s[10:11], s[0:1], 0x28
	s_load_dwordx2 s[4:5], s[0:1], 0x68
	s_mov_b32 s6, s3
	s_waitcnt lgkmcnt(0)
	s_bitcmp1_b32 s18, 0
	s_cselect_b64 s[12:13], -1, 0
	s_xor_b64 s[8:9], s[12:13], -1
	s_and_b64 vcc, exec, s[12:13]
	v_mov_b64_e32 v[2:3], s[10:11]
	s_cbranch_vccnz .LBB5_2
; %bb.1:
	v_mov_b64_e32 v[2:3], s[10:11]
	flat_load_dwordx2 v[2:3], v[2:3]
.LBB5_2:
	s_andn2_b64 vcc, exec, s[8:9]
	v_mov_b64_e32 v[4:5], s[4:5]
	s_cbranch_vccnz .LBB5_4
; %bb.3:
	v_mov_b64_e32 v[4:5], s[4:5]
	flat_load_dwordx2 v[4:5], v[4:5]
.LBB5_4:
	s_waitcnt vmcnt(0) lgkmcnt(0)
	v_cmp_neq_f64_e32 vcc, 0, v[2:3]
	v_cmp_neq_f64_e64 s[4:5], 1.0, v[4:5]
	s_mov_b64 s[18:19], 0
	s_or_b64 s[4:5], vcc, s[4:5]
	s_and_saveexec_b64 s[8:9], s[4:5]
	s_cbranch_execz .LBB5_52
; %bb.5:
	s_load_dwordx4 s[20:23], s[0:1], 0x8
	s_load_dwordx2 s[8:9], s[0:1], 0x30
	s_ashr_i32 s3, s2, 31
	v_mov_b64_e32 v[6:7], s[2:3]
	s_waitcnt lgkmcnt(0)
	v_cmp_le_i64_e32 vcc, s[20:21], v[6:7]
	v_cmp_gt_i64_e64 s[4:5], s[20:21], v[6:7]
	s_cbranch_vccz .LBB5_8
; %bb.6:
	s_andn2_b64 vcc, exec, s[4:5]
	s_mov_b64 s[20:21], 0
	s_cbranch_vccz .LBB5_9
.LBB5_7:
	s_load_dwordx2 s[28:29], s[0:1], 0x48
	s_waitcnt lgkmcnt(0)
	v_cmp_lt_i64_e64 s[8:9], s[28:29], 1
	s_and_b64 vcc, exec, s[8:9]
	s_cbranch_vccz .LBB5_10
	s_branch .LBB5_52
.LBB5_8:
	s_lshl_b64 s[10:11], s[2:3], 3
	s_add_u32 s10, s8, s10
	s_addc_u32 s11, s9, s11
	s_load_dwordx2 s[10:11], s[10:11], 0x0
	s_waitcnt lgkmcnt(0)
	s_sub_u32 s18, s10, s17
	s_subb_u32 s19, s11, 0
	s_andn2_b64 vcc, exec, s[4:5]
	s_mov_b64 s[20:21], 0
	s_cbranch_vccnz .LBB5_7
.LBB5_9:
	s_lshl_b64 s[10:11], s[2:3], 3
	s_add_u32 s8, s8, s10
	s_addc_u32 s9, s9, s11
	s_load_dwordx2 s[8:9], s[8:9], 0x8
	s_waitcnt lgkmcnt(0)
	s_sub_u32 s20, s8, s17
	s_subb_u32 s21, s9, 0
	s_load_dwordx2 s[28:29], s[0:1], 0x48
	s_waitcnt lgkmcnt(0)
	v_cmp_lt_i64_e64 s[8:9], s[28:29], 1
	s_and_b64 vcc, exec, s[8:9]
	s_cbranch_vccnz .LBB5_52
.LBB5_10:
	s_load_dwordx4 s[8:11], s[0:1], 0x70
	s_load_dwordx4 s[24:27], s[0:1], 0x50
	;; [unrolled: 1-line block ×3, first 2 shown]
	s_load_dwordx2 s[36:37], s[0:1], 0x0
	v_bfe_u32 v6, v0, 10, 10
	v_lshl_add_u32 v20, s6, 5, v6
	v_mov_b32_e32 v21, 0
	s_mov_b32 s33, s17
	s_waitcnt lgkmcnt(0)
	s_bitcmp1_b32 s36, 0
	s_cselect_b64 s[0:1], -1, 0
	s_xor_b64 s[30:31], s[0:1], -1
	s_mul_i32 s0, s29, s2
	s_mul_hi_u32 s1, s28, s2
	s_add_i32 s35, s1, s0
	v_cmp_gt_i64_e64 s[0:1], s[22:23], v[20:21]
	s_cmp_lg_u32 s37, 0
	s_cselect_b64 s[22:23], -1, 0
	s_and_b64 s[36:37], s[4:5], s[0:1]
	v_mad_u64_u32 v[12:13], s[4:5], s10, v20, 0
	v_mov_b32_e32 v14, v13
	v_mad_u64_u32 v[14:15], s[4:5], s11, v20, v[14:15]
	v_mov_b32_e32 v13, v14
	;; [unrolled: 2-line block ×3, first 2 shown]
	v_mad_u64_u32 v[18:19], s[4:5], s27, v20, v[18:19]
	s_cmp_lg_u32 s16, 1
	s_mul_i32 s4, s18, s29
	s_mul_hi_u32 s5, s18, s28
	s_cselect_b64 s[16:17], -1, 0
	s_add_i32 s4, s5, s4
	s_mul_i32 s5, s19, s28
	v_and_b32_e32 v0, 0x3ff, v0
	s_add_i32 s5, s4, s5
	s_mul_i32 s4, s18, s28
	v_lshlrev_b32_e32 v10, 3, v0
	v_mov_b32_e32 v11, v21
	s_lshl_b64 s[4:5], s[4:5], 3
	v_lshlrev_b64 v[16:17], 3, v[20:21]
	v_mov_b32_e32 v15, v18
	v_lshl_add_u64 v[18:19], s[4:5], 0, v[10:11]
	v_lshlrev_b32_e32 v20, 3, v6
	v_mul_lo_u32 v25, s28, v19
	v_mul_lo_u32 v26, s29, v18
	v_mad_u64_u32 v[18:19], s[6:7], s28, v18, v[20:21]
	v_mov_b32_e32 v1, v21
	v_mov_b64_e32 v[22:23], s[20:21]
	v_mov_b32_e32 v7, v21
	s_mul_i32 s6, s28, s29
	s_mul_hi_u32 s7, s28, s28
	v_lshl_add_u64 v[20:21], s[4:5], 0, v[20:21]
	v_add3_u32 v19, v26, v19, v25
	s_add_i32 s7, s7, s6
	v_mul_lo_u32 v25, s28, v21
	v_mul_lo_u32 v26, s29, v20
	v_mad_u64_u32 v[20:21], s[4:5], s28, v20, v[10:11]
	v_cmp_lt_i64_e32 vcc, s[18:19], v[22:23]
	v_or_b32_e32 v24, 0x2000, v10
	v_lshlrev_b32_e32 v40, 8, v6
	v_lshl_add_u64 v[14:15], v[14:15], 3, v[10:11]
	s_add_i32 s7, s7, s6
	s_mul_i32 s6, s28, s28
	v_add3_u32 v21, v26, v21, v25
	v_cndmask_b32_e64 v11, 0, 1, vcc
	v_lshl_add_u64 v[8:9], s[8:9], 0, v[16:17]
	s_mul_i32 s34, s28, s2
	s_mov_b64 s[38:39], 0
	v_cmp_neq_f64_e64 s[2:3], 0, v[4:5]
	v_lshl_add_u64 v[12:13], v[12:13], 3, s[8:9]
	v_lshl_add_u64 v[14:15], s[24:25], 0, v[14:15]
	s_lshl_b64 s[8:9], s[28:29], 3
	v_lshl_add_u64 v[16:17], s[24:25], 0, v[16:17]
	s_lshl_b64 s[24:25], s[26:27], 3
	s_lshl_b64 s[26:27], s[26:27], 8
	v_lshl_add_u64 v[18:19], s[14:15], 0, v[18:19]
	s_lshl_b64 s[40:41], s[28:29], 8
	s_lshl_b64 s[42:43], s[6:7], 3
	v_lshl_add_u64 v[20:21], s[14:15], 0, v[20:21]
	v_cmp_ne_u32_e64 s[4:5], 1, v11
	v_add_u32_e32 v11, v24, v40
	s_mov_b64 s[14:15], 0x100
	s_branch .LBB5_12
.LBB5_11:                               ;   in Loop: Header=BB5_12 Depth=1
	s_or_b64 exec, exec, s[6:7]
	s_add_u32 s38, s38, 32
	s_addc_u32 s39, s39, 0
	v_mov_b64_e32 v[22:23], s[28:29]
	v_cmp_lt_i64_e32 vcc, s[38:39], v[22:23]
	v_lshl_add_u64 v[18:19], v[18:19], 0, s[40:41]
	v_lshl_add_u64 v[20:21], v[20:21], 0, s[14:15]
	s_cbranch_vccz .LBB5_52
.LBB5_12:                               ; =>This Loop Header: Depth=1
                                        ;     Child Loop BB5_15 Depth 2
                                        ;       Child Loop BB5_19 Depth 3
	v_lshl_add_u64 v[24:25], s[38:39], 0, v[0:1]
	v_mov_b64_e32 v[22:23], 0
	s_and_b64 vcc, exec, s[4:5]
	v_cmp_gt_i64_e64 s[6:7], s[28:29], v[24:25]
	s_cbranch_vccnz .LBB5_41
; %bb.13:                               ;   in Loop: Header=BB5_12 Depth=1
	v_mov_b64_e32 v[22:23], 0
	v_mov_b64_e32 v[26:27], v[20:21]
	;; [unrolled: 1-line block ×3, first 2 shown]
	s_mov_b64 s[44:45], s[18:19]
	s_branch .LBB5_15
.LBB5_14:                               ;   in Loop: Header=BB5_15 Depth=2
	s_add_u32 s44, s44, 1
	s_addc_u32 s45, s45, 0
	v_mov_b64_e32 v[30:31], s[20:21]
	v_cmp_ge_i64_e32 vcc, s[44:45], v[30:31]
	v_lshl_add_u64 v[28:29], v[28:29], 0, s[42:43]
	v_lshl_add_u64 v[26:27], v[26:27], 0, s[42:43]
	s_cbranch_vccnz .LBB5_41
.LBB5_15:                               ;   Parent Loop BB5_12 Depth=1
                                        ; =>  This Loop Header: Depth=2
                                        ;       Child Loop BB5_19 Depth 3
	s_lshl_b64 s[46:47], s[44:45], 3
	s_add_u32 s46, s12, s46
	s_addc_u32 s47, s13, s47
	s_load_dwordx2 s[46:47], s[46:47], 0x0
	v_mov_b32_e32 v32, s28
	v_mov_b64_e32 v[36:37], v[28:29]
	s_waitcnt lgkmcnt(0)
	s_sub_u32 s48, s46, s33
	v_mov_b32_e32 v30, s48
	s_subb_u32 s49, s47, 0
	v_mad_u64_u32 v[30:31], s[46:47], s8, v30, v[14:15]
	s_mul_i32 s51, s8, s49
	s_mul_i32 s49, s49, s28
	;; [unrolled: 1-line block ×3, first 2 shown]
	s_add_i32 s49, s46, s49
	v_mad_u64_u32 v[32:33], s[46:47], s48, v32, v[0:1]
	s_mul_i32 s50, s9, s48
	v_add_u32_e32 v33, s49, v33
	s_add_i32 s51, s51, s50
	v_mul_lo_u32 v34, s24, v33
	v_mul_lo_u32 v35, s25, v32
	v_mad_u64_u32 v[32:33], s[46:47], s24, v32, v[16:17]
	v_add_u32_e32 v31, s51, v31
	v_add3_u32 v33, v35, v33, v34
	s_mov_b64 s[46:47], 0
	v_mov_b64_e32 v[34:35], v[26:27]
	s_branch .LBB5_19
.LBB5_16:                               ;   in Loop: Header=BB5_19 Depth=3
	s_or_b64 exec, exec, s[50:51]
.LBB5_17:                               ;   in Loop: Header=BB5_19 Depth=3
	s_or_b64 exec, exec, s[48:49]
.LBB5_18:                               ;   in Loop: Header=BB5_19 Depth=3
	v_add_u32_e32 v41, v10, v40
	s_waitcnt vmcnt(0)
	ds_write_b64 v41, v[38:39]
	s_waitcnt lgkmcnt(0)
	s_barrier
	ds_read2_b64 v[42:45], v10 offset1:32
	ds_read_b128 v[46:49], v40 offset:8192
	ds_read_b128 v[50:53], v40 offset:8208
	ds_read2_b64 v[54:57], v10 offset0:64 offset1:96
	ds_read_b128 v[58:61], v40 offset:8224
	ds_read_b128 v[62:65], v40 offset:8240
	ds_read2_b64 v[66:69], v10 offset0:128 offset1:160
	s_waitcnt lgkmcnt(5)
	v_fmac_f64_e32 v[22:23], v[42:43], v[46:47]
	v_fmac_f64_e32 v[22:23], v[44:45], v[48:49]
	ds_read2_b64 v[42:45], v10 offset0:192 offset1:224
	s_waitcnt lgkmcnt(4)
	v_fmac_f64_e32 v[22:23], v[54:55], v[50:51]
	v_fmac_f64_e32 v[22:23], v[56:57], v[52:53]
	s_waitcnt lgkmcnt(1)
	v_fmac_f64_e32 v[22:23], v[66:67], v[58:59]
	v_add_u32_e32 v38, 0x800, v10
	v_fmac_f64_e32 v[22:23], v[68:69], v[60:61]
	ds_read2_b64 v[46:49], v38 offset1:32
	ds_read_b128 v[50:53], v40 offset:8256
	s_waitcnt lgkmcnt(2)
	v_fmac_f64_e32 v[22:23], v[42:43], v[62:63]
	v_fmac_f64_e32 v[22:23], v[44:45], v[64:65]
	ds_read2_b64 v[42:45], v38 offset0:64 offset1:96
	ds_read_b128 v[54:57], v40 offset:8272
	ds_read2_b64 v[58:61], v38 offset0:128 offset1:160
	ds_read_b128 v[62:65], v40 offset:8288
	s_waitcnt lgkmcnt(4)
	v_fmac_f64_e32 v[22:23], v[46:47], v[50:51]
	v_fmac_f64_e32 v[22:23], v[48:49], v[52:53]
	ds_read2_b64 v[46:49], v38 offset0:192 offset1:224
	s_waitcnt lgkmcnt(3)
	v_fmac_f64_e32 v[22:23], v[42:43], v[54:55]
	v_fmac_f64_e32 v[22:23], v[44:45], v[56:57]
	ds_read_b128 v[42:45], v40 offset:8304
	s_waitcnt lgkmcnt(2)
	v_fmac_f64_e32 v[22:23], v[58:59], v[62:63]
	v_add_u32_e32 v38, 0x1000, v10
	v_fmac_f64_e32 v[22:23], v[60:61], v[64:65]
	ds_read2_b64 v[50:53], v38 offset1:32
	ds_read_b128 v[54:57], v40 offset:8320
	s_waitcnt lgkmcnt(2)
	v_fmac_f64_e32 v[22:23], v[46:47], v[42:43]
	v_fmac_f64_e32 v[22:23], v[48:49], v[44:45]
	ds_read2_b64 v[42:45], v38 offset0:64 offset1:96
	ds_read_b128 v[46:49], v40 offset:8336
	ds_read2_b64 v[58:61], v38 offset0:128 offset1:160
	ds_read_b128 v[62:65], v40 offset:8352
	s_waitcnt lgkmcnt(4)
	v_fmac_f64_e32 v[22:23], v[50:51], v[54:55]
	v_fmac_f64_e32 v[22:23], v[52:53], v[56:57]
	s_add_u32 s46, s46, 32
	s_waitcnt lgkmcnt(2)
	v_fmac_f64_e32 v[22:23], v[42:43], v[46:47]
	v_fmac_f64_e32 v[22:23], v[44:45], v[48:49]
	ds_read_b128 v[42:45], v40 offset:8368
	ds_read2_b64 v[46:49], v38 offset0:192 offset1:224
	s_waitcnt lgkmcnt(2)
	v_fmac_f64_e32 v[22:23], v[58:59], v[62:63]
	v_add_u32_e32 v38, 0x1800, v10
	ds_read2_b64 v[50:53], v38 offset1:32
	ds_read_b128 v[54:57], v40 offset:8384
	v_fmac_f64_e32 v[22:23], v[60:61], v[64:65]
	s_waitcnt lgkmcnt(2)
	v_fmac_f64_e32 v[22:23], v[46:47], v[42:43]
	v_fmac_f64_e32 v[22:23], v[48:49], v[44:45]
	ds_read_b128 v[42:45], v40 offset:8400
	s_waitcnt lgkmcnt(1)
	v_fmac_f64_e32 v[22:23], v[50:51], v[54:55]
	v_fmac_f64_e32 v[22:23], v[52:53], v[56:57]
	ds_read2_b64 v[46:49], v38 offset0:64 offset1:96
	ds_read2_b64 v[50:53], v38 offset0:128 offset1:160
	ds_read_b128 v[54:57], v40 offset:8416
	ds_read2_b64 v[58:61], v38 offset0:192 offset1:224
	ds_read_b128 v[62:65], v40 offset:8432
	s_addc_u32 s47, s47, 0
	s_waitcnt lgkmcnt(4)
	v_fmac_f64_e32 v[22:23], v[46:47], v[42:43]
	v_fmac_f64_e32 v[22:23], v[48:49], v[44:45]
	s_waitcnt lgkmcnt(2)
	v_fmac_f64_e32 v[22:23], v[50:51], v[54:55]
	v_fmac_f64_e32 v[22:23], v[52:53], v[56:57]
	v_mov_b64_e32 v[38:39], s[28:29]
	s_waitcnt lgkmcnt(0)
	v_fmac_f64_e32 v[22:23], v[58:59], v[62:63]
	v_cmp_ge_i64_e32 vcc, s[46:47], v[38:39]
	v_fmac_f64_e32 v[22:23], v[60:61], v[64:65]
	v_lshl_add_u64 v[30:31], v[30:31], 0, s[14:15]
	v_lshl_add_u64 v[32:33], v[32:33], 0, s[26:27]
	;; [unrolled: 1-line block ×4, first 2 shown]
	s_barrier
	s_cbranch_vccnz .LBB5_14
.LBB5_19:                               ;   Parent Loop BB5_12 Depth=1
                                        ;     Parent Loop BB5_15 Depth=2
                                        ; =>    This Inner Loop Header: Depth=3
	s_mov_b64 s[48:49], -1
	s_and_b64 vcc, exec, s[30:31]
                                        ; implicit-def: $vgpr38_vgpr39
	s_cbranch_vccnz .LBB5_27
; %bb.20:                               ;   in Loop: Header=BB5_19 Depth=3
	s_andn2_b64 vcc, exec, s[48:49]
	s_cbranch_vccz .LBB5_32
.LBB5_21:                               ;   in Loop: Header=BB5_19 Depth=3
	s_and_b64 vcc, exec, s[22:23]
	s_waitcnt vmcnt(0)
	ds_write_b64 v11, v[38:39]
	s_cbranch_vccz .LBB5_37
.LBB5_22:                               ;   in Loop: Header=BB5_19 Depth=3
	v_mov_b64_e32 v[38:39], 0
	s_and_saveexec_b64 s[48:49], s[6:7]
	s_cbranch_execz .LBB5_26
; %bb.23:                               ;   in Loop: Header=BB5_19 Depth=3
	v_lshl_add_u64 v[38:39], v[6:7], 0, s[46:47]
	v_cmp_gt_i64_e32 vcc, s[28:29], v[38:39]
	v_mov_b64_e32 v[38:39], 0
	s_and_saveexec_b64 s[50:51], vcc
	s_cbranch_execz .LBB5_25
; %bb.24:                               ;   in Loop: Header=BB5_19 Depth=3
	global_load_dwordx2 v[38:39], v[34:35], off
.LBB5_25:                               ;   in Loop: Header=BB5_19 Depth=3
	s_or_b64 exec, exec, s[50:51]
.LBB5_26:                               ;   in Loop: Header=BB5_19 Depth=3
	s_or_b64 exec, exec, s[48:49]
	s_cbranch_execnz .LBB5_18
	s_branch .LBB5_38
.LBB5_27:                               ;   in Loop: Header=BB5_19 Depth=3
	v_mov_b64_e32 v[38:39], 0
	s_and_saveexec_b64 s[48:49], s[0:1]
	s_cbranch_execz .LBB5_31
; %bb.28:                               ;   in Loop: Header=BB5_19 Depth=3
	v_lshl_add_u64 v[38:39], v[0:1], 0, s[46:47]
	v_cmp_gt_i64_e32 vcc, s[28:29], v[38:39]
	v_mov_b64_e32 v[38:39], 0
	s_and_saveexec_b64 s[50:51], vcc
	s_cbranch_execz .LBB5_30
; %bb.29:                               ;   in Loop: Header=BB5_19 Depth=3
	global_load_dwordx2 v[38:39], v[32:33], off
.LBB5_30:                               ;   in Loop: Header=BB5_19 Depth=3
	s_or_b64 exec, exec, s[50:51]
.LBB5_31:                               ;   in Loop: Header=BB5_19 Depth=3
	s_or_b64 exec, exec, s[48:49]
	s_cbranch_execnz .LBB5_21
.LBB5_32:                               ;   in Loop: Header=BB5_19 Depth=3
	s_waitcnt vmcnt(0)
	v_mov_b64_e32 v[38:39], 0
	s_and_saveexec_b64 s[48:49], s[0:1]
	s_cbranch_execz .LBB5_36
; %bb.33:                               ;   in Loop: Header=BB5_19 Depth=3
	v_lshl_add_u64 v[38:39], v[0:1], 0, s[46:47]
	v_cmp_gt_i64_e32 vcc, s[28:29], v[38:39]
	v_mov_b64_e32 v[38:39], 0
	s_and_saveexec_b64 s[50:51], vcc
	s_cbranch_execz .LBB5_35
; %bb.34:                               ;   in Loop: Header=BB5_19 Depth=3
	global_load_dwordx2 v[38:39], v[30:31], off
.LBB5_35:                               ;   in Loop: Header=BB5_19 Depth=3
	s_or_b64 exec, exec, s[50:51]
.LBB5_36:                               ;   in Loop: Header=BB5_19 Depth=3
	s_or_b64 exec, exec, s[48:49]
	s_and_b64 vcc, exec, s[22:23]
	s_waitcnt vmcnt(0)
	ds_write_b64 v11, v[38:39]
	s_cbranch_vccnz .LBB5_22
.LBB5_37:                               ;   in Loop: Header=BB5_19 Depth=3
                                        ; implicit-def: $vgpr38_vgpr39
.LBB5_38:                               ;   in Loop: Header=BB5_19 Depth=3
	s_waitcnt vmcnt(0)
	v_mov_b64_e32 v[38:39], 0
	s_and_saveexec_b64 s[48:49], s[6:7]
	s_cbranch_execz .LBB5_17
; %bb.39:                               ;   in Loop: Header=BB5_19 Depth=3
	v_lshl_add_u64 v[38:39], v[6:7], 0, s[46:47]
	v_cmp_gt_i64_e32 vcc, s[28:29], v[38:39]
	v_mov_b64_e32 v[38:39], 0
	s_and_saveexec_b64 s[50:51], vcc
	s_cbranch_execz .LBB5_16
; %bb.40:                               ;   in Loop: Header=BB5_19 Depth=3
	global_load_dwordx2 v[38:39], v[36:37], off
	s_branch .LBB5_16
.LBB5_41:                               ;   in Loop: Header=BB5_12 Depth=1
	v_cmp_gt_i64_e32 vcc, s[28:29], v[24:25]
	s_and_b64 s[44:45], s[36:37], vcc
	s_and_saveexec_b64 s[6:7], s[44:45]
	s_cbranch_execz .LBB5_11
; %bb.42:                               ;   in Loop: Header=BB5_12 Depth=1
	v_lshl_add_u64 v[24:25], v[24:25], 0, s[34:35]
	s_and_saveexec_b64 s[44:45], s[2:3]
	s_xor_b64 s[44:45], exec, s[44:45]
	s_cbranch_execz .LBB5_47
; %bb.43:                               ;   in Loop: Header=BB5_12 Depth=1
	s_mov_b64 s[46:47], -1
	s_and_b64 vcc, exec, s[16:17]
	s_cbranch_vccz .LBB5_45
; %bb.44:                               ;   in Loop: Header=BB5_12 Depth=1
	v_mul_lo_u32 v28, v25, s10
	v_mul_lo_u32 v29, v24, s11
	v_mad_u64_u32 v[26:27], s[46:47], v24, s10, 0
	v_add3_u32 v27, v27, v29, v28
	v_lshl_add_u64 v[26:27], v[26:27], 3, v[8:9]
	global_load_dwordx2 v[28:29], v[26:27], off
	v_mul_f64 v[30:31], v[2:3], v[22:23]
	s_mov_b64 s[46:47], 0
	s_waitcnt vmcnt(0)
	v_fmac_f64_e32 v[30:31], v[4:5], v[28:29]
	global_store_dwordx2 v[26:27], v[30:31], off
.LBB5_45:                               ;   in Loop: Header=BB5_12 Depth=1
	s_andn2_b64 vcc, exec, s[46:47]
	s_cbranch_vccnz .LBB5_47
; %bb.46:                               ;   in Loop: Header=BB5_12 Depth=1
	v_lshl_add_u64 v[24:25], v[24:25], 3, v[12:13]
	global_load_dwordx2 v[26:27], v[24:25], off
	v_mul_f64 v[22:23], v[2:3], v[22:23]
	s_waitcnt vmcnt(0)
	v_fmac_f64_e32 v[22:23], v[4:5], v[26:27]
	global_store_dwordx2 v[24:25], v[22:23], off
                                        ; implicit-def: $vgpr24_vgpr25
                                        ; implicit-def: $vgpr22_vgpr23
.LBB5_47:                               ;   in Loop: Header=BB5_12 Depth=1
	s_andn2_saveexec_b64 s[44:45], s[44:45]
	s_cbranch_execz .LBB5_11
; %bb.48:                               ;   in Loop: Header=BB5_12 Depth=1
	v_mul_f64 v[22:23], v[2:3], v[22:23]
	s_mov_b64 s[44:45], -1
	s_and_b64 vcc, exec, s[16:17]
	s_cbranch_vccz .LBB5_50
; %bb.49:                               ;   in Loop: Header=BB5_12 Depth=1
	v_mul_lo_u32 v28, v25, s10
	v_mul_lo_u32 v29, v24, s11
	v_mad_u64_u32 v[26:27], s[44:45], v24, s10, 0
	v_add3_u32 v27, v27, v29, v28
	v_lshl_add_u64 v[26:27], v[26:27], 3, v[8:9]
	global_store_dwordx2 v[26:27], v[22:23], off
	s_mov_b64 s[44:45], 0
.LBB5_50:                               ;   in Loop: Header=BB5_12 Depth=1
	s_andn2_b64 vcc, exec, s[44:45]
	s_cbranch_vccnz .LBB5_11
; %bb.51:                               ;   in Loop: Header=BB5_12 Depth=1
	v_lshl_add_u64 v[24:25], v[24:25], 3, v[12:13]
	global_store_dwordx2 v[24:25], v[22:23], off
	s_branch .LBB5_11
.LBB5_52:
	s_endpgm
	.section	.rodata,"a",@progbits
	.p2align	6, 0x0
	.amdhsa_kernel _ZN9rocsparseL29bsrmm_general_blockdim_kernelILj32ELj32EllddddEEvb20rocsparse_direction_T2_S2_llNS_24const_host_device_scalarIT6_EEPKT1_PKS2_PKT3_S2_PKT4_llS5_PT5_ll16rocsparse_order_21rocsparse_index_base_b
		.amdhsa_group_segment_fixed_size 16384
		.amdhsa_private_segment_fixed_size 0
		.amdhsa_kernarg_size 148
		.amdhsa_user_sgpr_count 2
		.amdhsa_user_sgpr_dispatch_ptr 0
		.amdhsa_user_sgpr_queue_ptr 0
		.amdhsa_user_sgpr_kernarg_segment_ptr 1
		.amdhsa_user_sgpr_dispatch_id 0
		.amdhsa_user_sgpr_kernarg_preload_length 0
		.amdhsa_user_sgpr_kernarg_preload_offset 0
		.amdhsa_user_sgpr_private_segment_size 0
		.amdhsa_uses_dynamic_stack 0
		.amdhsa_enable_private_segment 0
		.amdhsa_system_sgpr_workgroup_id_x 1
		.amdhsa_system_sgpr_workgroup_id_y 1
		.amdhsa_system_sgpr_workgroup_id_z 0
		.amdhsa_system_sgpr_workgroup_info 0
		.amdhsa_system_vgpr_workitem_id 1
		.amdhsa_next_free_vgpr 70
		.amdhsa_next_free_sgpr 52
		.amdhsa_accum_offset 72
		.amdhsa_reserve_vcc 1
		.amdhsa_float_round_mode_32 0
		.amdhsa_float_round_mode_16_64 0
		.amdhsa_float_denorm_mode_32 3
		.amdhsa_float_denorm_mode_16_64 3
		.amdhsa_dx10_clamp 1
		.amdhsa_ieee_mode 1
		.amdhsa_fp16_overflow 0
		.amdhsa_tg_split 0
		.amdhsa_exception_fp_ieee_invalid_op 0
		.amdhsa_exception_fp_denorm_src 0
		.amdhsa_exception_fp_ieee_div_zero 0
		.amdhsa_exception_fp_ieee_overflow 0
		.amdhsa_exception_fp_ieee_underflow 0
		.amdhsa_exception_fp_ieee_inexact 0
		.amdhsa_exception_int_div_zero 0
	.end_amdhsa_kernel
	.section	.text._ZN9rocsparseL29bsrmm_general_blockdim_kernelILj32ELj32EllddddEEvb20rocsparse_direction_T2_S2_llNS_24const_host_device_scalarIT6_EEPKT1_PKS2_PKT3_S2_PKT4_llS5_PT5_ll16rocsparse_order_21rocsparse_index_base_b,"axG",@progbits,_ZN9rocsparseL29bsrmm_general_blockdim_kernelILj32ELj32EllddddEEvb20rocsparse_direction_T2_S2_llNS_24const_host_device_scalarIT6_EEPKT1_PKS2_PKT3_S2_PKT4_llS5_PT5_ll16rocsparse_order_21rocsparse_index_base_b,comdat
.Lfunc_end5:
	.size	_ZN9rocsparseL29bsrmm_general_blockdim_kernelILj32ELj32EllddddEEvb20rocsparse_direction_T2_S2_llNS_24const_host_device_scalarIT6_EEPKT1_PKS2_PKT3_S2_PKT4_llS5_PT5_ll16rocsparse_order_21rocsparse_index_base_b, .Lfunc_end5-_ZN9rocsparseL29bsrmm_general_blockdim_kernelILj32ELj32EllddddEEvb20rocsparse_direction_T2_S2_llNS_24const_host_device_scalarIT6_EEPKT1_PKS2_PKT3_S2_PKT4_llS5_PT5_ll16rocsparse_order_21rocsparse_index_base_b
                                        ; -- End function
	.set _ZN9rocsparseL29bsrmm_general_blockdim_kernelILj32ELj32EllddddEEvb20rocsparse_direction_T2_S2_llNS_24const_host_device_scalarIT6_EEPKT1_PKS2_PKT3_S2_PKT4_llS5_PT5_ll16rocsparse_order_21rocsparse_index_base_b.num_vgpr, 70
	.set _ZN9rocsparseL29bsrmm_general_blockdim_kernelILj32ELj32EllddddEEvb20rocsparse_direction_T2_S2_llNS_24const_host_device_scalarIT6_EEPKT1_PKS2_PKT3_S2_PKT4_llS5_PT5_ll16rocsparse_order_21rocsparse_index_base_b.num_agpr, 0
	.set _ZN9rocsparseL29bsrmm_general_blockdim_kernelILj32ELj32EllddddEEvb20rocsparse_direction_T2_S2_llNS_24const_host_device_scalarIT6_EEPKT1_PKS2_PKT3_S2_PKT4_llS5_PT5_ll16rocsparse_order_21rocsparse_index_base_b.numbered_sgpr, 52
	.set _ZN9rocsparseL29bsrmm_general_blockdim_kernelILj32ELj32EllddddEEvb20rocsparse_direction_T2_S2_llNS_24const_host_device_scalarIT6_EEPKT1_PKS2_PKT3_S2_PKT4_llS5_PT5_ll16rocsparse_order_21rocsparse_index_base_b.num_named_barrier, 0
	.set _ZN9rocsparseL29bsrmm_general_blockdim_kernelILj32ELj32EllddddEEvb20rocsparse_direction_T2_S2_llNS_24const_host_device_scalarIT6_EEPKT1_PKS2_PKT3_S2_PKT4_llS5_PT5_ll16rocsparse_order_21rocsparse_index_base_b.private_seg_size, 0
	.set _ZN9rocsparseL29bsrmm_general_blockdim_kernelILj32ELj32EllddddEEvb20rocsparse_direction_T2_S2_llNS_24const_host_device_scalarIT6_EEPKT1_PKS2_PKT3_S2_PKT4_llS5_PT5_ll16rocsparse_order_21rocsparse_index_base_b.uses_vcc, 1
	.set _ZN9rocsparseL29bsrmm_general_blockdim_kernelILj32ELj32EllddddEEvb20rocsparse_direction_T2_S2_llNS_24const_host_device_scalarIT6_EEPKT1_PKS2_PKT3_S2_PKT4_llS5_PT5_ll16rocsparse_order_21rocsparse_index_base_b.uses_flat_scratch, 0
	.set _ZN9rocsparseL29bsrmm_general_blockdim_kernelILj32ELj32EllddddEEvb20rocsparse_direction_T2_S2_llNS_24const_host_device_scalarIT6_EEPKT1_PKS2_PKT3_S2_PKT4_llS5_PT5_ll16rocsparse_order_21rocsparse_index_base_b.has_dyn_sized_stack, 0
	.set _ZN9rocsparseL29bsrmm_general_blockdim_kernelILj32ELj32EllddddEEvb20rocsparse_direction_T2_S2_llNS_24const_host_device_scalarIT6_EEPKT1_PKS2_PKT3_S2_PKT4_llS5_PT5_ll16rocsparse_order_21rocsparse_index_base_b.has_recursion, 0
	.set _ZN9rocsparseL29bsrmm_general_blockdim_kernelILj32ELj32EllddddEEvb20rocsparse_direction_T2_S2_llNS_24const_host_device_scalarIT6_EEPKT1_PKS2_PKT3_S2_PKT4_llS5_PT5_ll16rocsparse_order_21rocsparse_index_base_b.has_indirect_call, 0
	.section	.AMDGPU.csdata,"",@progbits
; Kernel info:
; codeLenInByte = 2172
; TotalNumSgprs: 58
; NumVgprs: 70
; NumAgprs: 0
; TotalNumVgprs: 70
; ScratchSize: 0
; MemoryBound: 0
; FloatMode: 240
; IeeeMode: 1
; LDSByteSize: 16384 bytes/workgroup (compile time only)
; SGPRBlocks: 7
; VGPRBlocks: 8
; NumSGPRsForWavesPerEU: 58
; NumVGPRsForWavesPerEU: 70
; AccumOffset: 72
; Occupancy: 7
; WaveLimiterHint : 1
; COMPUTE_PGM_RSRC2:SCRATCH_EN: 0
; COMPUTE_PGM_RSRC2:USER_SGPR: 2
; COMPUTE_PGM_RSRC2:TRAP_HANDLER: 0
; COMPUTE_PGM_RSRC2:TGID_X_EN: 1
; COMPUTE_PGM_RSRC2:TGID_Y_EN: 1
; COMPUTE_PGM_RSRC2:TGID_Z_EN: 0
; COMPUTE_PGM_RSRC2:TIDIG_COMP_CNT: 1
; COMPUTE_PGM_RSRC3_GFX90A:ACCUM_OFFSET: 17
; COMPUTE_PGM_RSRC3_GFX90A:TG_SPLIT: 0
	.section	.text._ZN9rocsparseL29bsrmm_general_blockdim_kernelILj32ELj32Eii21rocsparse_complex_numIfES2_S2_S2_EEvb20rocsparse_direction_T2_S4_llNS_24const_host_device_scalarIT6_EEPKT1_PKS4_PKT3_S4_PKT4_llS7_PT5_ll16rocsparse_order_21rocsparse_index_base_b,"axG",@progbits,_ZN9rocsparseL29bsrmm_general_blockdim_kernelILj32ELj32Eii21rocsparse_complex_numIfES2_S2_S2_EEvb20rocsparse_direction_T2_S4_llNS_24const_host_device_scalarIT6_EEPKT1_PKS4_PKT3_S4_PKT4_llS7_PT5_ll16rocsparse_order_21rocsparse_index_base_b,comdat
	.globl	_ZN9rocsparseL29bsrmm_general_blockdim_kernelILj32ELj32Eii21rocsparse_complex_numIfES2_S2_S2_EEvb20rocsparse_direction_T2_S4_llNS_24const_host_device_scalarIT6_EEPKT1_PKS4_PKT3_S4_PKT4_llS7_PT5_ll16rocsparse_order_21rocsparse_index_base_b ; -- Begin function _ZN9rocsparseL29bsrmm_general_blockdim_kernelILj32ELj32Eii21rocsparse_complex_numIfES2_S2_S2_EEvb20rocsparse_direction_T2_S4_llNS_24const_host_device_scalarIT6_EEPKT1_PKS4_PKT3_S4_PKT4_llS7_PT5_ll16rocsparse_order_21rocsparse_index_base_b
	.p2align	8
	.type	_ZN9rocsparseL29bsrmm_general_blockdim_kernelILj32ELj32Eii21rocsparse_complex_numIfES2_S2_S2_EEvb20rocsparse_direction_T2_S4_llNS_24const_host_device_scalarIT6_EEPKT1_PKS4_PKT3_S4_PKT4_llS7_PT5_ll16rocsparse_order_21rocsparse_index_base_b,@function
_ZN9rocsparseL29bsrmm_general_blockdim_kernelILj32ELj32Eii21rocsparse_complex_numIfES2_S2_S2_EEvb20rocsparse_direction_T2_S4_llNS_24const_host_device_scalarIT6_EEPKT1_PKS4_PKT3_S4_PKT4_llS7_PT5_ll16rocsparse_order_21rocsparse_index_base_b: ; @_ZN9rocsparseL29bsrmm_general_blockdim_kernelILj32ELj32Eii21rocsparse_complex_numIfES2_S2_S2_EEvb20rocsparse_direction_T2_S4_llNS_24const_host_device_scalarIT6_EEPKT1_PKS4_PKT3_S4_PKT4_llS7_PT5_ll16rocsparse_order_21rocsparse_index_base_b
; %bb.0:
	s_load_dwordx2 s[4:5], s[0:1], 0x20
	s_load_dwordx4 s[12:15], s[0:1], 0x80
	s_mov_b32 s6, s3
	s_add_u32 s3, s0, 32
	s_addc_u32 s7, s1, 0
	s_load_dwordx2 s[8:9], s[0:1], 0x60
	s_add_u32 s10, s0, 0x60
	s_addc_u32 s11, s1, 0
	s_waitcnt lgkmcnt(0)
	s_bitcmp1_b32 s14, 0
	s_cselect_b32 s3, s3, s4
	s_cselect_b32 s5, s7, s5
	v_mov_b32_e32 v2, s3
	s_cselect_b32 s3, s11, s9
	s_cselect_b32 s4, s10, s8
	v_mov_b32_e32 v3, s5
	v_mov_b32_e32 v4, s4
	;; [unrolled: 1-line block ×3, first 2 shown]
	flat_load_dwordx2 v[2:3], v[2:3]
	s_mov_b32 s33, 0
	flat_load_dwordx2 v[4:5], v[4:5]
	s_waitcnt vmcnt(0) lgkmcnt(0)
	v_cmp_eq_f32_e32 vcc, 0, v2
	v_cmp_eq_f32_e64 s[8:9], 0, v3
	v_cmp_eq_f32_e64 s[10:11], 1.0, v4
	v_cmp_eq_f32_e64 s[4:5], 0, v5
	s_and_b64 s[8:9], vcc, s[8:9]
	s_and_b64 s[10:11], s[10:11], s[4:5]
	s_and_b64 s[8:9], s[8:9], s[10:11]
	s_xor_b64 s[8:9], s[8:9], -1
	s_and_saveexec_b64 s[10:11], s[8:9]
	s_cbranch_execz .LBB6_52
; %bb.1:
	s_load_dwordx4 s[24:27], s[0:1], 0x0
	s_load_dwordx2 s[8:9], s[0:1], 0x28
	s_waitcnt lgkmcnt(0)
	s_cmp_lt_i32 s2, s26
	s_cselect_b64 s[28:29], -1, 0
	s_cmp_ge_i32 s2, s26
	s_cbranch_scc0 .LBB6_4
; %bb.2:
	s_andn2_b64 vcc, exec, s[28:29]
	s_mov_b32 s38, 0
	s_cbranch_vccz .LBB6_5
.LBB6_3:
	s_load_dword s39, s[0:1], 0x40
	s_waitcnt lgkmcnt(0)
	s_cmp_lt_i32 s39, 1
	s_cbranch_scc0 .LBB6_6
	s_branch .LBB6_52
.LBB6_4:
	s_ashr_i32 s3, s2, 31
	s_lshl_b64 s[10:11], s[2:3], 2
	s_add_u32 s10, s8, s10
	s_addc_u32 s11, s9, s11
	s_load_dword s3, s[10:11], 0x0
	s_waitcnt lgkmcnt(0)
	s_sub_i32 s33, s3, s13
	s_andn2_b64 vcc, exec, s[28:29]
	s_mov_b32 s38, 0
	s_cbranch_vccnz .LBB6_3
.LBB6_5:
	s_ashr_i32 s3, s2, 31
	s_lshl_b64 s[10:11], s[2:3], 2
	s_add_u32 s8, s8, s10
	s_addc_u32 s9, s9, s11
	s_load_dword s3, s[8:9], 0x4
	s_waitcnt lgkmcnt(0)
	s_sub_i32 s38, s3, s13
	s_load_dword s39, s[0:1], 0x40
	s_waitcnt lgkmcnt(0)
	s_cmp_lt_i32 s39, 1
	s_cbranch_scc1 .LBB6_52
.LBB6_6:
	s_load_dwordx4 s[8:11], s[0:1], 0x68
	s_load_dwordx4 s[16:19], s[0:1], 0x30
	;; [unrolled: 1-line block ×3, first 2 shown]
	s_bitcmp1_b32 s24, 0
	s_cselect_b64 s[0:1], -1, 0
	v_and_b32_e32 v1, 0x3ff, v0
	v_bfe_u32 v0, v0, 10, 10
	s_xor_b64 s[14:15], s[0:1], -1
	v_lshl_add_u32 v16, s6, 5, v0
	s_cmp_lt_i32 s33, s38
	s_mul_i32 s40, s39, s2
	s_cselect_b64 s[2:3], -1, 0
	v_ashrrev_i32_e32 v17, 31, v16
	s_waitcnt lgkmcnt(0)
	v_mad_u64_u32 v[8:9], s[6:7], s22, v16, 0
	s_cmp_lg_u32 s25, 0
	v_mul_lo_u32 v12, s22, v17
	v_mul_lo_u32 v13, s23, v16
	s_cselect_b64 s[6:7], -1, 0
	v_cmp_neq_f32_e32 vcc, 0, v4
	s_xor_b64 s[4:5], s[4:5], -1
	v_cmp_gt_i32_e64 s[0:1], s27, v16
	v_lshlrev_b64 v[10:11], 3, v[16:17]
	v_add3_u32 v9, v9, v12, v13
	s_or_b64 s[24:25], vcc, s[4:5]
	v_mul_lo_u32 v13, s10, v17
	v_mul_lo_u32 v15, s11, v16
	v_mad_u64_u32 v[16:17], s[4:5], s10, v16, 0
	s_mul_i32 s4, s33, s39
	s_nop 0
	v_add_u32_e32 v18, s4, v1
	v_lshlrev_b32_e32 v30, 3, v1
	v_lshl_add_u64 v[6:7], s[20:21], 0, v[10:11]
	v_lshl_add_u64 v[8:9], v[8:9], 3, s[20:21]
	s_and_b64 s[20:21], s[28:29], s[0:1]
	v_mad_u64_u32 v[18:19], s[4:5], s39, v18, v[0:1]
	v_or_b32_e32 v20, 0x2000, v30
	v_lshlrev_b32_e32 v31, 8, v0
	s_cmp_lg_u32 s12, 1
	v_add3_u32 v17, v17, v13, v15
	v_cndmask_b32_e64 v19, 0, 1, s[2:3]
	s_mov_b32 s41, 0
	s_cselect_b64 s[26:27], -1, 0
	v_lshl_add_u64 v[10:11], s[8:9], 0, v[10:11]
	v_xor_b32_e32 v12, 0x80000000, v3
	v_xor_b32_e32 v14, 0x80000000, v5
	v_lshl_add_u64 v[16:17], v[16:17], 3, s[8:9]
	v_mov_b32_e32 v13, v2
	v_mov_b32_e32 v15, v4
	s_lshl_b32 s12, s39, 5
	s_mul_i32 s42, s39, s39
	v_cmp_ne_u32_e64 s[2:3], 1, v19
	v_add_u32_e32 v19, v20, v31
	v_add_u32_e32 v32, v30, v31
	v_mov_b32_e32 v20, 0
	v_add_u32_e32 v33, 0x800, v30
	v_add_u32_e32 v34, 0x1000, v30
	;; [unrolled: 1-line block ×3, first 2 shown]
	s_branch .LBB6_8
.LBB6_7:                                ;   in Loop: Header=BB6_8 Depth=1
	s_or_b64 exec, exec, s[4:5]
	s_add_i32 s41, s41, 32
	s_cmp_lt_i32 s41, s39
	v_add_u32_e32 v18, s12, v18
	s_cbranch_scc0 .LBB6_52
.LBB6_8:                                ; =>This Loop Header: Depth=1
                                        ;     Child Loop BB6_11 Depth 2
                                        ;       Child Loop BB6_13 Depth 3
	v_add_u32_e32 v22, s41, v1
	s_and_b64 vcc, exec, s[2:3]
	v_cmp_gt_i32_e64 s[4:5], s39, v22
	v_mov_b32_e32 v25, 0
	v_mov_b32_e32 v24, 0
	s_cbranch_vccnz .LBB6_41
; %bb.9:                                ;   in Loop: Header=BB6_8 Depth=1
	v_mov_b32_e32 v21, v20
	v_mov_b32_e32 v23, v18
	s_mov_b32 s8, s33
	v_mov_b64_e32 v[24:25], v[20:21]
	s_branch .LBB6_11
.LBB6_10:                               ;   in Loop: Header=BB6_11 Depth=2
	s_add_i32 s8, s8, 1
	s_cmp_ge_i32 s8, s38
	v_add_u32_e32 v23, s42, v23
	s_cbranch_scc1 .LBB6_41
.LBB6_11:                               ;   Parent Loop BB6_8 Depth=1
                                        ; =>  This Loop Header: Depth=2
                                        ;       Child Loop BB6_13 Depth 3
	s_ashr_i32 s9, s8, 31
	s_lshl_b64 s[28:29], s[8:9], 2
	s_add_u32 s28, s16, s28
	s_addc_u32 s29, s17, s29
	s_load_dword s28, s[28:29], 0x0
	s_mul_i32 s9, s8, s39
	s_mov_b32 s43, 0
	s_waitcnt lgkmcnt(0)
	s_sub_i32 s28, s28, s13
	s_mul_i32 s28, s28, s39
	v_add_u32_e32 v21, s28, v1
	s_branch .LBB6_13
.LBB6_12:                               ;   in Loop: Header=BB6_13 Depth=3
	s_or_b64 exec, exec, s[30:31]
	s_waitcnt vmcnt(0)
	ds_write_b64 v32, v[28:29]
	s_waitcnt lgkmcnt(0)
	s_barrier
	ds_read2_b64 v[26:29], v30 offset1:32
	ds_read_b128 v[36:39], v31 offset:8192
	ds_read_b128 v[40:43], v31 offset:8208
	;; [unrolled: 1-line block ×4, first 2 shown]
	s_waitcnt lgkmcnt(4)
	v_xor_b32_e32 v52, 0x80000000, v27
	s_waitcnt lgkmcnt(3)
	v_pk_fma_f32 v[24:25], v[26:27], v[36:37], v[24:25] op_sel_hi:[1,0,1]
	v_mov_b32_e32 v53, v26
	v_pk_fma_f32 v[36:37], v[52:53], v[36:37], v[24:25] op_sel:[0,1,0]
	ds_read2_b64 v[24:27], v30 offset0:64 offset1:96
	v_xor_b32_e32 v52, 0x80000000, v29
	v_pk_fma_f32 v[36:37], v[28:29], v[38:39], v[36:37] op_sel_hi:[1,0,1]
	v_mov_b32_e32 v53, v28
	v_mov_b32_e32 v28, v39
	v_pk_fma_f32 v[28:29], v[52:53], v[28:29], v[36:37] op_sel_hi:[1,0,1]
	s_waitcnt lgkmcnt(0)
	v_xor_b32_e32 v36, 0x80000000, v25
	v_pk_fma_f32 v[28:29], v[24:25], v[40:41], v[28:29] op_sel_hi:[1,0,1]
	v_mov_b32_e32 v37, v24
	v_pk_fma_f32 v[24:25], v[36:37], v[40:41], v[28:29] op_sel:[0,1,0]
	ds_read2_b64 v[36:39], v30 offset0:128 offset1:160
	v_xor_b32_e32 v28, 0x80000000, v27
	v_pk_fma_f32 v[24:25], v[26:27], v[42:43], v[24:25] op_sel_hi:[1,0,1]
	v_mov_b32_e32 v29, v26
	v_mov_b32_e32 v26, v43
	v_pk_fma_f32 v[24:25], v[28:29], v[26:27], v[24:25] op_sel_hi:[1,0,1]
	s_waitcnt lgkmcnt(0)
	v_xor_b32_e32 v28, 0x80000000, v37
	;; [unrolled: 11-line block ×3, first 2 shown]
	v_pk_fma_f32 v[28:29], v[40:41], v[48:49], v[28:29] op_sel_hi:[1,0,1]
	v_mov_b32_e32 v37, v40
	ds_read_b128 v[24:27], v31 offset:8256
	v_pk_fma_f32 v[28:29], v[36:37], v[48:49], v[28:29] op_sel:[0,1,0]
	ds_read2_b64 v[36:39], v33 offset1:32
	v_xor_b32_e32 v40, 0x80000000, v43
	v_pk_fma_f32 v[28:29], v[42:43], v[50:51], v[28:29] op_sel_hi:[1,0,1]
	v_mov_b32_e32 v41, v42
	v_mov_b32_e32 v42, v51
	v_pk_fma_f32 v[28:29], v[40:41], v[42:43], v[28:29] op_sel_hi:[1,0,1]
	s_waitcnt lgkmcnt(0)
	v_xor_b32_e32 v44, 0x80000000, v37
	ds_read_b128 v[40:43], v31 offset:8272
	v_pk_fma_f32 v[28:29], v[36:37], v[24:25], v[28:29] op_sel_hi:[1,0,1]
	v_mov_b32_e32 v45, v36
	v_pk_fma_f32 v[24:25], v[44:45], v[24:25], v[28:29] op_sel:[0,1,0]
	v_xor_b32_e32 v28, 0x80000000, v39
	v_pk_fma_f32 v[24:25], v[38:39], v[26:27], v[24:25] op_sel_hi:[1,0,1]
	v_mov_b32_e32 v29, v38
	ds_read2_b64 v[36:39], v33 offset0:64 offset1:96
	v_mov_b32_e32 v26, v27
	v_pk_fma_f32 v[28:29], v[28:29], v[26:27], v[24:25] op_sel_hi:[1,0,1]
	ds_read_b128 v[24:27], v31 offset:8288
	ds_read_b128 v[44:47], v31 offset:8304
	s_add_i32 s43, s43, 32
	s_waitcnt lgkmcnt(2)
	v_xor_b32_e32 v48, 0x80000000, v37
	v_pk_fma_f32 v[28:29], v[36:37], v[40:41], v[28:29] op_sel_hi:[1,0,1]
	v_mov_b32_e32 v49, v36
	v_pk_fma_f32 v[28:29], v[48:49], v[40:41], v[28:29] op_sel:[0,1,0]
	ds_read2_b64 v[48:51], v33 offset0:128 offset1:160
	v_xor_b32_e32 v36, 0x80000000, v39
	v_pk_fma_f32 v[28:29], v[38:39], v[42:43], v[28:29] op_sel_hi:[1,0,1]
	v_mov_b32_e32 v37, v38
	v_mov_b32_e32 v38, v43
	v_pk_fma_f32 v[28:29], v[36:37], v[38:39], v[28:29] op_sel_hi:[1,0,1]
	s_waitcnt lgkmcnt(0)
	v_xor_b32_e32 v36, 0x80000000, v49
	v_pk_fma_f32 v[28:29], v[48:49], v[24:25], v[28:29] op_sel_hi:[1,0,1]
	v_mov_b32_e32 v37, v48
	v_pk_fma_f32 v[24:25], v[36:37], v[24:25], v[28:29] op_sel:[0,1,0]
	ds_read2_b64 v[36:39], v33 offset0:192 offset1:224
	v_xor_b32_e32 v28, 0x80000000, v51
	v_pk_fma_f32 v[24:25], v[50:51], v[26:27], v[24:25] op_sel_hi:[1,0,1]
	v_mov_b32_e32 v29, v50
	v_mov_b32_e32 v26, v27
	v_pk_fma_f32 v[24:25], v[28:29], v[26:27], v[24:25] op_sel_hi:[1,0,1]
	s_waitcnt lgkmcnt(0)
	v_xor_b32_e32 v26, 0x80000000, v37
	v_pk_fma_f32 v[24:25], v[36:37], v[44:45], v[24:25] op_sel_hi:[1,0,1]
	v_mov_b32_e32 v27, v36
	v_pk_fma_f32 v[24:25], v[26:27], v[44:45], v[24:25] op_sel:[0,1,0]
	v_xor_b32_e32 v28, 0x80000000, v39
	v_pk_fma_f32 v[36:37], v[38:39], v[46:47], v[24:25] op_sel_hi:[1,0,1]
	ds_read_b128 v[24:27], v31 offset:8320
	ds_read_b128 v[40:43], v31 offset:8336
	ds_read2_b64 v[48:51], v34 offset1:32
	ds_read_b128 v[52:55], v31 offset:8352
	v_mov_b32_e32 v29, v38
	v_mov_b32_e32 v38, v47
	v_pk_fma_f32 v[28:29], v[28:29], v[38:39], v[36:37] op_sel_hi:[1,0,1]
	s_waitcnt lgkmcnt(1)
	v_xor_b32_e32 v36, 0x80000000, v49
	v_pk_fma_f32 v[28:29], v[48:49], v[24:25], v[28:29] op_sel_hi:[1,0,1]
	v_mov_b32_e32 v37, v48
	v_pk_fma_f32 v[24:25], v[36:37], v[24:25], v[28:29] op_sel:[0,1,0]
	ds_read2_b64 v[36:39], v34 offset0:64 offset1:96
	v_xor_b32_e32 v28, 0x80000000, v51
	v_pk_fma_f32 v[24:25], v[50:51], v[26:27], v[24:25] op_sel_hi:[1,0,1]
	v_mov_b32_e32 v29, v50
	v_mov_b32_e32 v26, v27
	v_pk_fma_f32 v[24:25], v[28:29], v[26:27], v[24:25] op_sel_hi:[1,0,1]
	s_waitcnt lgkmcnt(0)
	v_xor_b32_e32 v26, 0x80000000, v37
	v_pk_fma_f32 v[24:25], v[36:37], v[40:41], v[24:25] op_sel_hi:[1,0,1]
	v_mov_b32_e32 v27, v36
	v_pk_fma_f32 v[28:29], v[26:27], v[40:41], v[24:25] op_sel:[0,1,0]
	ds_read2_b64 v[24:27], v34 offset0:128 offset1:160
	v_xor_b32_e32 v36, 0x80000000, v39
	v_pk_fma_f32 v[28:29], v[38:39], v[42:43], v[28:29] op_sel_hi:[1,0,1]
	v_mov_b32_e32 v37, v38
	v_mov_b32_e32 v38, v43
	v_pk_fma_f32 v[28:29], v[36:37], v[38:39], v[28:29] op_sel_hi:[1,0,1]
	s_waitcnt lgkmcnt(0)
	v_xor_b32_e32 v40, 0x80000000, v25
	v_pk_fma_f32 v[28:29], v[24:25], v[52:53], v[28:29] op_sel_hi:[1,0,1]
	v_mov_b32_e32 v41, v24
	ds_read_b128 v[36:39], v31 offset:8368
	v_pk_fma_f32 v[24:25], v[40:41], v[52:53], v[28:29] op_sel:[0,1,0]
	ds_read_b128 v[40:43], v31 offset:8384
	ds_read_b128 v[44:47], v31 offset:8400
	ds_read2_b64 v[48:51], v34 offset0:192 offset1:224
	v_xor_b32_e32 v28, 0x80000000, v27
	v_pk_fma_f32 v[24:25], v[26:27], v[54:55], v[24:25] op_sel_hi:[1,0,1]
	v_mov_b32_e32 v29, v26
	v_mov_b32_e32 v26, v55
	v_pk_fma_f32 v[24:25], v[28:29], v[26:27], v[24:25] op_sel_hi:[1,0,1]
	s_waitcnt lgkmcnt(0)
	v_xor_b32_e32 v26, 0x80000000, v49
	v_pk_fma_f32 v[24:25], v[48:49], v[36:37], v[24:25] op_sel_hi:[1,0,1]
	v_mov_b32_e32 v27, v48
	v_pk_fma_f32 v[28:29], v[26:27], v[36:37], v[24:25] op_sel:[0,1,0]
	ds_read2_b64 v[24:27], v35 offset1:32
	v_xor_b32_e32 v36, 0x80000000, v51
	v_pk_fma_f32 v[28:29], v[50:51], v[38:39], v[28:29] op_sel_hi:[1,0,1]
	v_mov_b32_e32 v37, v50
	v_mov_b32_e32 v38, v39
	v_pk_fma_f32 v[28:29], v[36:37], v[38:39], v[28:29] op_sel_hi:[1,0,1]
	s_waitcnt lgkmcnt(0)
	v_xor_b32_e32 v36, 0x80000000, v25
	v_pk_fma_f32 v[28:29], v[24:25], v[40:41], v[28:29] op_sel_hi:[1,0,1]
	v_mov_b32_e32 v37, v24
	v_pk_fma_f32 v[24:25], v[36:37], v[40:41], v[28:29] op_sel:[0,1,0]
	ds_read2_b64 v[36:39], v35 offset0:64 offset1:96
	v_xor_b32_e32 v28, 0x80000000, v27
	v_pk_fma_f32 v[24:25], v[26:27], v[42:43], v[24:25] op_sel_hi:[1,0,1]
	v_mov_b32_e32 v29, v26
	v_mov_b32_e32 v26, v43
	v_pk_fma_f32 v[24:25], v[28:29], v[26:27], v[24:25] op_sel_hi:[1,0,1]
	s_waitcnt lgkmcnt(0)
	v_xor_b32_e32 v28, 0x80000000, v37
	v_pk_fma_f32 v[48:49], v[36:37], v[44:45], v[24:25] op_sel_hi:[1,0,1]
	v_mov_b32_e32 v29, v36
	ds_read_b128 v[24:27], v31 offset:8416
	ds_read_b128 v[40:43], v31 offset:8432
	v_pk_fma_f32 v[28:29], v[28:29], v[44:45], v[48:49] op_sel:[0,1,0]
	ds_read2_b64 v[48:51], v35 offset0:128 offset1:160
	v_xor_b32_e32 v36, 0x80000000, v39
	v_pk_fma_f32 v[28:29], v[38:39], v[46:47], v[28:29] op_sel_hi:[1,0,1]
	v_mov_b32_e32 v37, v38
	v_mov_b32_e32 v38, v47
	v_pk_fma_f32 v[28:29], v[36:37], v[38:39], v[28:29] op_sel_hi:[1,0,1]
	s_waitcnt lgkmcnt(0)
	v_xor_b32_e32 v36, 0x80000000, v49
	v_pk_fma_f32 v[28:29], v[48:49], v[24:25], v[28:29] op_sel_hi:[1,0,1]
	v_mov_b32_e32 v37, v48
	v_pk_fma_f32 v[24:25], v[36:37], v[24:25], v[28:29] op_sel:[0,1,0]
	ds_read2_b64 v[36:39], v35 offset0:192 offset1:224
	v_xor_b32_e32 v28, 0x80000000, v51
	v_pk_fma_f32 v[24:25], v[50:51], v[26:27], v[24:25] op_sel_hi:[1,0,1]
	v_mov_b32_e32 v29, v50
	v_mov_b32_e32 v26, v27
	v_pk_fma_f32 v[24:25], v[28:29], v[26:27], v[24:25] op_sel_hi:[1,0,1]
	s_waitcnt lgkmcnt(0)
	v_xor_b32_e32 v26, 0x80000000, v37
	v_pk_fma_f32 v[24:25], v[36:37], v[40:41], v[24:25] op_sel_hi:[1,0,1]
	v_mov_b32_e32 v27, v36
	v_pk_fma_f32 v[24:25], v[26:27], v[40:41], v[24:25] op_sel:[0,1,0]
	v_xor_b32_e32 v26, 0x80000000, v39
	v_pk_fma_f32 v[24:25], v[38:39], v[42:43], v[24:25] op_sel_hi:[1,0,1]
	v_mov_b32_e32 v27, v38
	v_mov_b32_e32 v28, v43
	v_pk_fma_f32 v[24:25], v[26:27], v[28:29], v[24:25] op_sel_hi:[1,0,1]
	s_cmp_ge_i32 s43, s39
	s_barrier
	s_cbranch_scc1 .LBB6_10
.LBB6_13:                               ;   Parent Loop BB6_8 Depth=1
                                        ;     Parent Loop BB6_11 Depth=2
                                        ; =>    This Inner Loop Header: Depth=3
	s_and_b64 vcc, exec, s[14:15]
	s_cbranch_vccz .LBB6_19
; %bb.14:                               ;   in Loop: Header=BB6_13 Depth=3
	s_mov_b64 s[30:31], 0
	s_mov_b64 s[28:29], 0
                                        ; implicit-def: $vgpr26_vgpr27
	s_and_saveexec_b64 s[34:35], s[0:1]
	s_cbranch_execz .LBB6_18
; %bb.15:                               ;   in Loop: Header=BB6_13 Depth=3
	v_add_u32_e32 v26, s43, v1
	v_cmp_gt_i32_e32 vcc, s39, v26
                                        ; implicit-def: $vgpr26_vgpr27
	s_and_saveexec_b64 s[36:37], vcc
	s_xor_b64 s[36:37], exec, s[36:37]
; %bb.16:                               ;   in Loop: Header=BB6_13 Depth=3
	v_add_u32_e32 v26, s43, v21
	v_ashrrev_i32_e32 v27, 31, v26
	v_mul_lo_u32 v28, s22, v27
	v_mul_lo_u32 v29, s23, v26
	v_mad_u64_u32 v[26:27], s[44:45], s22, v26, 0
	v_add3_u32 v27, v27, v28, v29
	s_mov_b64 s[28:29], exec
	v_lshl_add_u64 v[26:27], v[26:27], 3, v[6:7]
; %bb.17:                               ;   in Loop: Header=BB6_13 Depth=3
	s_or_b64 exec, exec, s[36:37]
	s_and_b64 s[28:29], s[28:29], exec
.LBB6_18:                               ;   in Loop: Header=BB6_13 Depth=3
	s_or_b64 exec, exec, s[34:35]
	s_and_b64 vcc, exec, s[30:31]
	s_cbranch_vccnz .LBB6_20
	s_branch .LBB6_25
.LBB6_19:                               ;   in Loop: Header=BB6_13 Depth=3
	s_mov_b64 s[28:29], 0
                                        ; implicit-def: $vgpr26_vgpr27
	s_cbranch_execz .LBB6_25
.LBB6_20:                               ;   in Loop: Header=BB6_13 Depth=3
                                        ; implicit-def: $vgpr26_vgpr27
	s_and_saveexec_b64 s[30:31], s[0:1]
	s_cbranch_execz .LBB6_24
; %bb.21:                               ;   in Loop: Header=BB6_13 Depth=3
	v_add_u32_e32 v26, s43, v1
	v_cmp_gt_i32_e32 vcc, s39, v26
	s_mov_b64 s[36:37], s[28:29]
                                        ; implicit-def: $vgpr26_vgpr27
	s_and_saveexec_b64 s[34:35], vcc
; %bb.22:                               ;   in Loop: Header=BB6_13 Depth=3
	v_add_u32_e32 v26, s43, v21
	v_ashrrev_i32_e32 v27, 31, v26
	v_lshl_add_u64 v[26:27], v[26:27], 3, v[8:9]
	s_or_b64 s[36:37], s[28:29], exec
; %bb.23:                               ;   in Loop: Header=BB6_13 Depth=3
	s_or_b64 exec, exec, s[34:35]
	s_andn2_b64 s[28:29], s[28:29], exec
	s_and_b64 s[34:35], s[36:37], exec
	s_or_b64 s[28:29], s[28:29], s[34:35]
.LBB6_24:                               ;   in Loop: Header=BB6_13 Depth=3
	s_or_b64 exec, exec, s[30:31]
.LBB6_25:                               ;   in Loop: Header=BB6_13 Depth=3
	v_mov_b32_e32 v28, 0
	v_mov_b32_e32 v29, 0
	s_and_saveexec_b64 s[30:31], s[28:29]
	s_cbranch_execnz .LBB6_33
; %bb.26:                               ;   in Loop: Header=BB6_13 Depth=3
	s_or_b64 exec, exec, s[30:31]
	s_and_b64 vcc, exec, s[6:7]
	ds_write_b64 v19, v[28:29]
	s_cbranch_vccz .LBB6_34
.LBB6_27:                               ;   in Loop: Header=BB6_13 Depth=3
	s_mov_b64 s[30:31], 0
	s_mov_b64 s[28:29], 0
                                        ; implicit-def: $vgpr26
	s_and_saveexec_b64 s[34:35], s[4:5]
	s_cbranch_execz .LBB6_31
; %bb.28:                               ;   in Loop: Header=BB6_13 Depth=3
	v_add_u32_e32 v27, s43, v0
	v_cmp_gt_i32_e32 vcc, s39, v27
                                        ; implicit-def: $vgpr26
	s_and_saveexec_b64 s[36:37], vcc
	s_xor_b64 s[36:37], exec, s[36:37]
; %bb.29:                               ;   in Loop: Header=BB6_13 Depth=3
	v_add_u32_e32 v26, s9, v27
	s_mov_b64 s[28:29], exec
	v_mad_u64_u32 v[26:27], s[44:45], v26, s39, v[22:23]
; %bb.30:                               ;   in Loop: Header=BB6_13 Depth=3
	s_or_b64 exec, exec, s[36:37]
	s_and_b64 s[28:29], s[28:29], exec
.LBB6_31:                               ;   in Loop: Header=BB6_13 Depth=3
	s_or_b64 exec, exec, s[34:35]
	s_and_b64 vcc, exec, s[30:31]
	s_cbranch_vccnz .LBB6_35
.LBB6_32:                               ;   in Loop: Header=BB6_13 Depth=3
	v_mov_b32_e32 v28, 0
	v_mov_b32_e32 v29, 0
	s_and_saveexec_b64 s[30:31], s[28:29]
	s_cbranch_execz .LBB6_12
	s_branch .LBB6_40
.LBB6_33:                               ;   in Loop: Header=BB6_13 Depth=3
	global_load_dwordx2 v[28:29], v[26:27], off
	s_or_b64 exec, exec, s[30:31]
	s_and_b64 vcc, exec, s[6:7]
	s_waitcnt vmcnt(0)
	ds_write_b64 v19, v[28:29]
	s_cbranch_vccnz .LBB6_27
.LBB6_34:                               ;   in Loop: Header=BB6_13 Depth=3
	s_mov_b64 s[28:29], 0
                                        ; implicit-def: $vgpr26
	s_cbranch_execz .LBB6_32
.LBB6_35:                               ;   in Loop: Header=BB6_13 Depth=3
                                        ; implicit-def: $vgpr26
	s_and_saveexec_b64 s[30:31], s[4:5]
	s_cbranch_execz .LBB6_39
; %bb.36:                               ;   in Loop: Header=BB6_13 Depth=3
	v_add_u32_e32 v26, s43, v0
	v_cmp_gt_i32_e32 vcc, s39, v26
	s_mov_b64 s[34:35], s[28:29]
                                        ; implicit-def: $vgpr26
	s_and_saveexec_b64 s[36:37], vcc
; %bb.37:                               ;   in Loop: Header=BB6_13 Depth=3
	v_add_u32_e32 v26, s43, v23
	s_or_b64 s[34:35], s[28:29], exec
; %bb.38:                               ;   in Loop: Header=BB6_13 Depth=3
	s_or_b64 exec, exec, s[36:37]
	s_andn2_b64 s[28:29], s[28:29], exec
	s_and_b64 s[34:35], s[34:35], exec
	s_or_b64 s[28:29], s[28:29], s[34:35]
.LBB6_39:                               ;   in Loop: Header=BB6_13 Depth=3
	s_or_b64 exec, exec, s[30:31]
	v_mov_b32_e32 v28, 0
	v_mov_b32_e32 v29, 0
	s_and_saveexec_b64 s[30:31], s[28:29]
	s_cbranch_execz .LBB6_12
.LBB6_40:                               ;   in Loop: Header=BB6_13 Depth=3
	v_ashrrev_i32_e32 v27, 31, v26
	v_lshl_add_u64 v[26:27], v[26:27], 3, s[18:19]
	global_load_dwordx2 v[28:29], v[26:27], off
	s_branch .LBB6_12
.LBB6_41:                               ;   in Loop: Header=BB6_8 Depth=1
	v_cmp_gt_i32_e32 vcc, s39, v22
	s_and_b64 s[8:9], s[20:21], vcc
	s_and_saveexec_b64 s[4:5], s[8:9]
	s_cbranch_execz .LBB6_7
; %bb.42:                               ;   in Loop: Header=BB6_8 Depth=1
	v_add_u32_e32 v22, s40, v22
	v_ashrrev_i32_e32 v23, 31, v22
	s_and_saveexec_b64 s[8:9], s[24:25]
	s_xor_b64 s[8:9], exec, s[8:9]
	s_cbranch_execz .LBB6_47
; %bb.43:                               ;   in Loop: Header=BB6_8 Depth=1
	s_mov_b64 s[28:29], -1
	s_and_b64 vcc, exec, s[26:27]
	s_cbranch_vccz .LBB6_45
; %bb.44:                               ;   in Loop: Header=BB6_8 Depth=1
	v_mul_lo_u32 v21, s11, v22
	v_mul_lo_u32 v28, s10, v23
	v_mad_u64_u32 v[26:27], s[28:29], s10, v22, 0
	v_add3_u32 v27, v27, v28, v21
	v_lshl_add_u64 v[26:27], v[26:27], 3, v[10:11]
	global_load_dwordx2 v[28:29], v[26:27], off
	v_pk_mul_f32 v[36:37], v[24:25], v[12:13] op_sel:[1,0]
	s_mov_b64 s[28:29], 0
	v_pk_fma_f32 v[36:37], v[2:3], v[24:25], v[36:37] op_sel_hi:[1,0,1]
	s_waitcnt vmcnt(0)
	v_pk_fma_f32 v[36:37], v[4:5], v[28:29], v[36:37] op_sel_hi:[1,0,1]
	s_nop 0
	v_pk_fma_f32 v[28:29], v[14:15], v[28:29], v[36:37] op_sel:[0,1,0]
	global_store_dwordx2 v[26:27], v[28:29], off
.LBB6_45:                               ;   in Loop: Header=BB6_8 Depth=1
	s_andn2_b64 vcc, exec, s[28:29]
	s_cbranch_vccnz .LBB6_47
; %bb.46:                               ;   in Loop: Header=BB6_8 Depth=1
	v_lshl_add_u64 v[22:23], v[22:23], 3, v[16:17]
	global_load_dwordx2 v[26:27], v[22:23], off
	v_pk_mul_f32 v[28:29], v[24:25], v[12:13] op_sel:[1,0]
	s_nop 0
	v_pk_fma_f32 v[24:25], v[2:3], v[24:25], v[28:29] op_sel_hi:[1,0,1]
	s_waitcnt vmcnt(0)
	v_pk_fma_f32 v[24:25], v[4:5], v[26:27], v[24:25] op_sel_hi:[1,0,1]
	s_nop 0
	v_pk_fma_f32 v[24:25], v[14:15], v[26:27], v[24:25] op_sel:[0,1,0]
	global_store_dwordx2 v[22:23], v[24:25], off
                                        ; implicit-def: $vgpr24_vgpr25
                                        ; implicit-def: $vgpr22
.LBB6_47:                               ;   in Loop: Header=BB6_8 Depth=1
	s_andn2_saveexec_b64 s[8:9], s[8:9]
	s_cbranch_execz .LBB6_7
; %bb.48:                               ;   in Loop: Header=BB6_8 Depth=1
	v_pk_mul_f32 v[26:27], v[24:25], v[12:13] op_sel:[1,0]
	s_mov_b64 s[8:9], -1
	v_pk_fma_f32 v[24:25], v[2:3], v[24:25], v[26:27] op_sel_hi:[1,0,1]
	s_and_b64 vcc, exec, s[26:27]
	s_cbranch_vccz .LBB6_50
; %bb.49:                               ;   in Loop: Header=BB6_8 Depth=1
	v_mul_lo_u32 v21, s11, v22
	v_mul_lo_u32 v28, s10, v23
	v_mad_u64_u32 v[26:27], s[8:9], s10, v22, 0
	v_add3_u32 v27, v27, v28, v21
	v_lshl_add_u64 v[26:27], v[26:27], 3, v[10:11]
	global_store_dwordx2 v[26:27], v[24:25], off
	s_mov_b64 s[8:9], 0
.LBB6_50:                               ;   in Loop: Header=BB6_8 Depth=1
	s_andn2_b64 vcc, exec, s[8:9]
	s_cbranch_vccnz .LBB6_7
; %bb.51:                               ;   in Loop: Header=BB6_8 Depth=1
	v_lshl_add_u64 v[22:23], v[22:23], 3, v[16:17]
	global_store_dwordx2 v[22:23], v[24:25], off
	s_branch .LBB6_7
.LBB6_52:
	s_endpgm
	.section	.rodata,"a",@progbits
	.p2align	6, 0x0
	.amdhsa_kernel _ZN9rocsparseL29bsrmm_general_blockdim_kernelILj32ELj32Eii21rocsparse_complex_numIfES2_S2_S2_EEvb20rocsparse_direction_T2_S4_llNS_24const_host_device_scalarIT6_EEPKT1_PKS4_PKT3_S4_PKT4_llS7_PT5_ll16rocsparse_order_21rocsparse_index_base_b
		.amdhsa_group_segment_fixed_size 16384
		.amdhsa_private_segment_fixed_size 0
		.amdhsa_kernarg_size 140
		.amdhsa_user_sgpr_count 2
		.amdhsa_user_sgpr_dispatch_ptr 0
		.amdhsa_user_sgpr_queue_ptr 0
		.amdhsa_user_sgpr_kernarg_segment_ptr 1
		.amdhsa_user_sgpr_dispatch_id 0
		.amdhsa_user_sgpr_kernarg_preload_length 0
		.amdhsa_user_sgpr_kernarg_preload_offset 0
		.amdhsa_user_sgpr_private_segment_size 0
		.amdhsa_uses_dynamic_stack 0
		.amdhsa_enable_private_segment 0
		.amdhsa_system_sgpr_workgroup_id_x 1
		.amdhsa_system_sgpr_workgroup_id_y 1
		.amdhsa_system_sgpr_workgroup_id_z 0
		.amdhsa_system_sgpr_workgroup_info 0
		.amdhsa_system_vgpr_workitem_id 1
		.amdhsa_next_free_vgpr 56
		.amdhsa_next_free_sgpr 46
		.amdhsa_accum_offset 56
		.amdhsa_reserve_vcc 1
		.amdhsa_float_round_mode_32 0
		.amdhsa_float_round_mode_16_64 0
		.amdhsa_float_denorm_mode_32 3
		.amdhsa_float_denorm_mode_16_64 3
		.amdhsa_dx10_clamp 1
		.amdhsa_ieee_mode 1
		.amdhsa_fp16_overflow 0
		.amdhsa_tg_split 0
		.amdhsa_exception_fp_ieee_invalid_op 0
		.amdhsa_exception_fp_denorm_src 0
		.amdhsa_exception_fp_ieee_div_zero 0
		.amdhsa_exception_fp_ieee_overflow 0
		.amdhsa_exception_fp_ieee_underflow 0
		.amdhsa_exception_fp_ieee_inexact 0
		.amdhsa_exception_int_div_zero 0
	.end_amdhsa_kernel
	.section	.text._ZN9rocsparseL29bsrmm_general_blockdim_kernelILj32ELj32Eii21rocsparse_complex_numIfES2_S2_S2_EEvb20rocsparse_direction_T2_S4_llNS_24const_host_device_scalarIT6_EEPKT1_PKS4_PKT3_S4_PKT4_llS7_PT5_ll16rocsparse_order_21rocsparse_index_base_b,"axG",@progbits,_ZN9rocsparseL29bsrmm_general_blockdim_kernelILj32ELj32Eii21rocsparse_complex_numIfES2_S2_S2_EEvb20rocsparse_direction_T2_S4_llNS_24const_host_device_scalarIT6_EEPKT1_PKS4_PKT3_S4_PKT4_llS7_PT5_ll16rocsparse_order_21rocsparse_index_base_b,comdat
.Lfunc_end6:
	.size	_ZN9rocsparseL29bsrmm_general_blockdim_kernelILj32ELj32Eii21rocsparse_complex_numIfES2_S2_S2_EEvb20rocsparse_direction_T2_S4_llNS_24const_host_device_scalarIT6_EEPKT1_PKS4_PKT3_S4_PKT4_llS7_PT5_ll16rocsparse_order_21rocsparse_index_base_b, .Lfunc_end6-_ZN9rocsparseL29bsrmm_general_blockdim_kernelILj32ELj32Eii21rocsparse_complex_numIfES2_S2_S2_EEvb20rocsparse_direction_T2_S4_llNS_24const_host_device_scalarIT6_EEPKT1_PKS4_PKT3_S4_PKT4_llS7_PT5_ll16rocsparse_order_21rocsparse_index_base_b
                                        ; -- End function
	.set _ZN9rocsparseL29bsrmm_general_blockdim_kernelILj32ELj32Eii21rocsparse_complex_numIfES2_S2_S2_EEvb20rocsparse_direction_T2_S4_llNS_24const_host_device_scalarIT6_EEPKT1_PKS4_PKT3_S4_PKT4_llS7_PT5_ll16rocsparse_order_21rocsparse_index_base_b.num_vgpr, 56
	.set _ZN9rocsparseL29bsrmm_general_blockdim_kernelILj32ELj32Eii21rocsparse_complex_numIfES2_S2_S2_EEvb20rocsparse_direction_T2_S4_llNS_24const_host_device_scalarIT6_EEPKT1_PKS4_PKT3_S4_PKT4_llS7_PT5_ll16rocsparse_order_21rocsparse_index_base_b.num_agpr, 0
	.set _ZN9rocsparseL29bsrmm_general_blockdim_kernelILj32ELj32Eii21rocsparse_complex_numIfES2_S2_S2_EEvb20rocsparse_direction_T2_S4_llNS_24const_host_device_scalarIT6_EEPKT1_PKS4_PKT3_S4_PKT4_llS7_PT5_ll16rocsparse_order_21rocsparse_index_base_b.numbered_sgpr, 46
	.set _ZN9rocsparseL29bsrmm_general_blockdim_kernelILj32ELj32Eii21rocsparse_complex_numIfES2_S2_S2_EEvb20rocsparse_direction_T2_S4_llNS_24const_host_device_scalarIT6_EEPKT1_PKS4_PKT3_S4_PKT4_llS7_PT5_ll16rocsparse_order_21rocsparse_index_base_b.num_named_barrier, 0
	.set _ZN9rocsparseL29bsrmm_general_blockdim_kernelILj32ELj32Eii21rocsparse_complex_numIfES2_S2_S2_EEvb20rocsparse_direction_T2_S4_llNS_24const_host_device_scalarIT6_EEPKT1_PKS4_PKT3_S4_PKT4_llS7_PT5_ll16rocsparse_order_21rocsparse_index_base_b.private_seg_size, 0
	.set _ZN9rocsparseL29bsrmm_general_blockdim_kernelILj32ELj32Eii21rocsparse_complex_numIfES2_S2_S2_EEvb20rocsparse_direction_T2_S4_llNS_24const_host_device_scalarIT6_EEPKT1_PKS4_PKT3_S4_PKT4_llS7_PT5_ll16rocsparse_order_21rocsparse_index_base_b.uses_vcc, 1
	.set _ZN9rocsparseL29bsrmm_general_blockdim_kernelILj32ELj32Eii21rocsparse_complex_numIfES2_S2_S2_EEvb20rocsparse_direction_T2_S4_llNS_24const_host_device_scalarIT6_EEPKT1_PKS4_PKT3_S4_PKT4_llS7_PT5_ll16rocsparse_order_21rocsparse_index_base_b.uses_flat_scratch, 0
	.set _ZN9rocsparseL29bsrmm_general_blockdim_kernelILj32ELj32Eii21rocsparse_complex_numIfES2_S2_S2_EEvb20rocsparse_direction_T2_S4_llNS_24const_host_device_scalarIT6_EEPKT1_PKS4_PKT3_S4_PKT4_llS7_PT5_ll16rocsparse_order_21rocsparse_index_base_b.has_dyn_sized_stack, 0
	.set _ZN9rocsparseL29bsrmm_general_blockdim_kernelILj32ELj32Eii21rocsparse_complex_numIfES2_S2_S2_EEvb20rocsparse_direction_T2_S4_llNS_24const_host_device_scalarIT6_EEPKT1_PKS4_PKT3_S4_PKT4_llS7_PT5_ll16rocsparse_order_21rocsparse_index_base_b.has_recursion, 0
	.set _ZN9rocsparseL29bsrmm_general_blockdim_kernelILj32ELj32Eii21rocsparse_complex_numIfES2_S2_S2_EEvb20rocsparse_direction_T2_S4_llNS_24const_host_device_scalarIT6_EEPKT1_PKS4_PKT3_S4_PKT4_llS7_PT5_ll16rocsparse_order_21rocsparse_index_base_b.has_indirect_call, 0
	.section	.AMDGPU.csdata,"",@progbits
; Kernel info:
; codeLenInByte = 2932
; TotalNumSgprs: 52
; NumVgprs: 56
; NumAgprs: 0
; TotalNumVgprs: 56
; ScratchSize: 0
; MemoryBound: 0
; FloatMode: 240
; IeeeMode: 1
; LDSByteSize: 16384 bytes/workgroup (compile time only)
; SGPRBlocks: 6
; VGPRBlocks: 6
; NumSGPRsForWavesPerEU: 52
; NumVGPRsForWavesPerEU: 56
; AccumOffset: 56
; Occupancy: 8
; WaveLimiterHint : 0
; COMPUTE_PGM_RSRC2:SCRATCH_EN: 0
; COMPUTE_PGM_RSRC2:USER_SGPR: 2
; COMPUTE_PGM_RSRC2:TRAP_HANDLER: 0
; COMPUTE_PGM_RSRC2:TGID_X_EN: 1
; COMPUTE_PGM_RSRC2:TGID_Y_EN: 1
; COMPUTE_PGM_RSRC2:TGID_Z_EN: 0
; COMPUTE_PGM_RSRC2:TIDIG_COMP_CNT: 1
; COMPUTE_PGM_RSRC3_GFX90A:ACCUM_OFFSET: 13
; COMPUTE_PGM_RSRC3_GFX90A:TG_SPLIT: 0
	.section	.text._ZN9rocsparseL29bsrmm_general_blockdim_kernelILj32ELj32Eli21rocsparse_complex_numIfES2_S2_S2_EEvb20rocsparse_direction_T2_S4_llNS_24const_host_device_scalarIT6_EEPKT1_PKS4_PKT3_S4_PKT4_llS7_PT5_ll16rocsparse_order_21rocsparse_index_base_b,"axG",@progbits,_ZN9rocsparseL29bsrmm_general_blockdim_kernelILj32ELj32Eli21rocsparse_complex_numIfES2_S2_S2_EEvb20rocsparse_direction_T2_S4_llNS_24const_host_device_scalarIT6_EEPKT1_PKS4_PKT3_S4_PKT4_llS7_PT5_ll16rocsparse_order_21rocsparse_index_base_b,comdat
	.globl	_ZN9rocsparseL29bsrmm_general_blockdim_kernelILj32ELj32Eli21rocsparse_complex_numIfES2_S2_S2_EEvb20rocsparse_direction_T2_S4_llNS_24const_host_device_scalarIT6_EEPKT1_PKS4_PKT3_S4_PKT4_llS7_PT5_ll16rocsparse_order_21rocsparse_index_base_b ; -- Begin function _ZN9rocsparseL29bsrmm_general_blockdim_kernelILj32ELj32Eli21rocsparse_complex_numIfES2_S2_S2_EEvb20rocsparse_direction_T2_S4_llNS_24const_host_device_scalarIT6_EEPKT1_PKS4_PKT3_S4_PKT4_llS7_PT5_ll16rocsparse_order_21rocsparse_index_base_b
	.p2align	8
	.type	_ZN9rocsparseL29bsrmm_general_blockdim_kernelILj32ELj32Eli21rocsparse_complex_numIfES2_S2_S2_EEvb20rocsparse_direction_T2_S4_llNS_24const_host_device_scalarIT6_EEPKT1_PKS4_PKT3_S4_PKT4_llS7_PT5_ll16rocsparse_order_21rocsparse_index_base_b,@function
_ZN9rocsparseL29bsrmm_general_blockdim_kernelILj32ELj32Eli21rocsparse_complex_numIfES2_S2_S2_EEvb20rocsparse_direction_T2_S4_llNS_24const_host_device_scalarIT6_EEPKT1_PKS4_PKT3_S4_PKT4_llS7_PT5_ll16rocsparse_order_21rocsparse_index_base_b: ; @_ZN9rocsparseL29bsrmm_general_blockdim_kernelILj32ELj32Eli21rocsparse_complex_numIfES2_S2_S2_EEvb20rocsparse_direction_T2_S4_llNS_24const_host_device_scalarIT6_EEPKT1_PKS4_PKT3_S4_PKT4_llS7_PT5_ll16rocsparse_order_21rocsparse_index_base_b
; %bb.0:
	s_load_dwordx2 s[4:5], s[0:1], 0x20
	s_load_dwordx4 s[12:15], s[0:1], 0x80
	s_mov_b32 s6, s3
	s_add_u32 s3, s0, 32
	s_addc_u32 s7, s1, 0
	s_load_dwordx2 s[8:9], s[0:1], 0x60
	s_add_u32 s10, s0, 0x60
	s_addc_u32 s11, s1, 0
	s_waitcnt lgkmcnt(0)
	s_bitcmp1_b32 s14, 0
	s_cselect_b32 s3, s3, s4
	s_cselect_b32 s5, s7, s5
	v_mov_b32_e32 v2, s3
	s_cselect_b32 s3, s11, s9
	s_cselect_b32 s4, s10, s8
	v_mov_b32_e32 v3, s5
	v_mov_b32_e32 v4, s4
	;; [unrolled: 1-line block ×3, first 2 shown]
	flat_load_dwordx2 v[2:3], v[2:3]
	s_waitcnt vmcnt(0) lgkmcnt(0)
	v_cmp_eq_f32_e32 vcc, 0, v2
	flat_load_dwordx2 v[4:5], v[4:5]
	v_cmp_eq_f32_e64 s[8:9], 0, v3
	s_and_b64 s[8:9], vcc, s[8:9]
	s_waitcnt vmcnt(0) lgkmcnt(0)
	v_cmp_eq_f32_e64 s[10:11], 1.0, v4
	v_cmp_eq_f32_e64 s[4:5], 0, v5
	s_and_b64 s[10:11], s[10:11], s[4:5]
	s_and_b64 s[8:9], s[8:9], s[10:11]
	s_xor_b64 s[8:9], s[8:9], -1
	s_and_saveexec_b64 s[10:11], s[8:9]
	s_cbranch_execz .LBB7_48
; %bb.1:
	s_load_dwordx4 s[24:27], s[0:1], 0x0
	s_load_dwordx2 s[8:9], s[0:1], 0x28
	s_mov_b64 s[14:15], 0
	s_mov_b64 s[28:29], 0
	s_waitcnt lgkmcnt(0)
	s_cmp_lt_i32 s2, s26
	s_cselect_b64 s[34:35], -1, 0
	s_cmp_ge_i32 s2, s26
	s_cbranch_scc0 .LBB7_4
; %bb.2:
	s_andn2_b64 vcc, exec, s[34:35]
	s_cbranch_vccz .LBB7_5
.LBB7_3:
	s_load_dword s33, s[0:1], 0x40
	s_waitcnt lgkmcnt(0)
	s_cmp_lt_i32 s33, 1
	s_cbranch_scc0 .LBB7_6
	s_branch .LBB7_48
.LBB7_4:
	s_ashr_i32 s3, s2, 31
	s_lshl_b64 s[10:11], s[2:3], 3
	s_add_u32 s10, s8, s10
	s_addc_u32 s11, s9, s11
	s_load_dwordx2 s[10:11], s[10:11], 0x0
	s_waitcnt lgkmcnt(0)
	s_sub_u32 s28, s10, s13
	s_subb_u32 s29, s11, 0
	s_andn2_b64 vcc, exec, s[34:35]
	s_cbranch_vccnz .LBB7_3
.LBB7_5:
	s_ashr_i32 s3, s2, 31
	s_lshl_b64 s[10:11], s[2:3], 3
	s_add_u32 s8, s8, s10
	s_addc_u32 s9, s9, s11
	s_load_dwordx2 s[8:9], s[8:9], 0x8
	s_waitcnt lgkmcnt(0)
	s_sub_u32 s14, s8, s13
	s_subb_u32 s15, s9, 0
	s_load_dword s33, s[0:1], 0x40
	s_waitcnt lgkmcnt(0)
	s_cmp_lt_i32 s33, 1
	s_cbranch_scc1 .LBB7_48
.LBB7_6:
	s_load_dwordx4 s[8:11], s[0:1], 0x68
	s_load_dwordx4 s[16:19], s[0:1], 0x30
	;; [unrolled: 1-line block ×3, first 2 shown]
	v_bfe_u32 v27, v0, 10, 10
	s_bitcmp1_b32 s24, 0
	s_cselect_b64 s[0:1], -1, 0
	v_lshl_add_u32 v14, s6, 5, v27
	s_xor_b64 s[30:31], s[0:1], -1
	v_ashrrev_i32_e32 v15, 31, v14
	s_mul_i32 s44, s33, s2
	s_waitcnt lgkmcnt(0)
	v_mul_lo_u32 v10, s22, v15
	v_mul_lo_u32 v11, s23, v14
	v_mad_u64_u32 v[6:7], s[2:3], s22, v14, 0
	s_cmp_lg_u32 s25, 0
	v_and_b32_e32 v26, 0x3ff, v0
	v_mov_b64_e32 v[16:17], s[14:15]
	v_cmp_gt_i32_e64 s[0:1], s27, v14
	v_lshlrev_b64 v[8:9], 3, v[14:15]
	v_add3_u32 v7, v7, v10, v11
	s_cselect_b64 s[6:7], -1, 0
	v_cmp_neq_f32_e32 vcc, 0, v4
	s_xor_b64 s[2:3], s[4:5], -1
	v_lshlrev_b32_e32 v28, 3, v26
	v_lshl_add_u64 v[0:1], s[20:21], 0, v[8:9]
	v_lshl_add_u64 v[6:7], v[6:7], 3, s[20:21]
	s_and_b64 s[20:21], s[34:35], s[0:1]
	s_or_b64 s[24:25], vcc, s[2:3]
	v_mul_lo_u32 v11, s10, v15
	v_mul_lo_u32 v13, s11, v14
	v_mad_u64_u32 v[14:15], s[2:3], s10, v14, 0
	v_cmp_lt_i64_e32 vcc, s[28:29], v[16:17]
	v_or_b32_e32 v18, 0x2000, v28
	v_lshlrev_b32_e32 v29, 8, v27
	s_cmp_lg_u32 s12, 1
	v_add3_u32 v15, v15, v11, v13
	v_cndmask_b32_e64 v16, 0, 1, vcc
	s_mov_b32 s45, 0
	s_mul_i32 s46, s33, s33
	s_cselect_b64 s[26:27], -1, 0
	v_lshl_add_u64 v[8:9], s[8:9], 0, v[8:9]
	v_xor_b32_e32 v10, 0x80000000, v3
	v_xor_b32_e32 v12, 0x80000000, v5
	v_lshl_add_u64 v[14:15], v[14:15], 3, s[8:9]
	v_mov_b32_e32 v11, v2
	v_mov_b32_e32 v13, v4
	v_cmp_ne_u32_e64 s[2:3], 1, v16
	v_add_u32_e32 v30, v18, v29
	v_add_u32_e32 v31, v28, v29
	v_mov_b32_e32 v16, 0
	v_add_u32_e32 v32, 0x800, v28
	v_add_u32_e32 v33, 0x1000, v28
	;; [unrolled: 1-line block ×3, first 2 shown]
	s_branch .LBB7_8
.LBB7_7:                                ;   in Loop: Header=BB7_8 Depth=1
	s_or_b64 exec, exec, s[4:5]
	s_add_i32 s45, s45, 32
	s_cmp_lt_i32 s45, s33
	s_cbranch_scc0 .LBB7_48
.LBB7_8:                                ; =>This Loop Header: Depth=1
                                        ;     Child Loop BB7_11 Depth 2
                                        ;       Child Loop BB7_13 Depth 3
	v_add_u32_e32 v35, s45, v26
	s_and_b64 vcc, exec, s[2:3]
	v_cmp_gt_i32_e64 s[4:5], s33, v35
	v_mov_b32_e32 v19, 0
	v_mov_b32_e32 v18, 0
	s_cbranch_vccnz .LBB7_37
; %bb.9:                                ;   in Loop: Header=BB7_8 Depth=1
	v_mov_b32_e32 v17, v16
	v_mul_lo_u32 v36, v35, s33
	s_mov_b64 s[8:9], s[28:29]
	v_mov_b64_e32 v[18:19], v[16:17]
	s_branch .LBB7_11
.LBB7_10:                               ;   in Loop: Header=BB7_11 Depth=2
	s_add_u32 s8, s8, 1
	s_addc_u32 s9, s9, 0
	v_mov_b64_e32 v[20:21], s[14:15]
	v_cmp_ge_i64_e32 vcc, s[8:9], v[20:21]
	s_cbranch_vccnz .LBB7_37
.LBB7_11:                               ;   Parent Loop BB7_8 Depth=1
                                        ; =>  This Loop Header: Depth=2
                                        ;       Child Loop BB7_13 Depth 3
	s_lshl_b64 s[34:35], s[8:9], 2
	s_add_u32 s34, s16, s34
	s_addc_u32 s35, s17, s35
	s_load_dword s12, s[34:35], 0x0
	s_mul_i32 s35, s9, s46
	s_mul_hi_u32 s36, s8, s46
	s_mul_i32 s34, s8, s46
	s_add_i32 s35, s36, s35
	s_waitcnt lgkmcnt(0)
	s_sub_i32 s12, s12, s13
	s_lshl_b64 s[34:35], s[34:35], 3
	s_mul_i32 s12, s12, s33
	s_add_u32 s34, s18, s34
	s_addc_u32 s35, s19, s35
	v_add_u32_e32 v17, s12, v26
	s_mov_b32 s12, 0
	s_branch .LBB7_13
.LBB7_12:                               ;   in Loop: Header=BB7_13 Depth=3
	s_or_b64 exec, exec, s[36:37]
	s_waitcnt vmcnt(0)
	ds_write_b64 v31, v[24:25]
	s_waitcnt lgkmcnt(0)
	s_barrier
	ds_read2_b64 v[20:23], v28 offset1:32
	ds_read_b128 v[38:41], v29 offset:8192
	ds_read_b128 v[42:45], v29 offset:8208
	;; [unrolled: 1-line block ×4, first 2 shown]
	s_waitcnt lgkmcnt(4)
	v_xor_b32_e32 v24, 0x80000000, v21
	s_waitcnt lgkmcnt(3)
	v_pk_fma_f32 v[18:19], v[20:21], v[38:39], v[18:19] op_sel_hi:[1,0,1]
	v_mov_b32_e32 v25, v20
	v_pk_fma_f32 v[24:25], v[24:25], v[38:39], v[18:19] op_sel:[0,1,0]
	ds_read2_b64 v[18:21], v28 offset0:64 offset1:96
	v_xor_b32_e32 v38, 0x80000000, v23
	v_pk_fma_f32 v[24:25], v[22:23], v[40:41], v[24:25] op_sel_hi:[1,0,1]
	v_mov_b32_e32 v39, v22
	v_mov_b32_e32 v22, v41
	v_pk_fma_f32 v[22:23], v[38:39], v[22:23], v[24:25] op_sel_hi:[1,0,1]
	s_waitcnt lgkmcnt(0)
	v_xor_b32_e32 v24, 0x80000000, v19
	v_pk_fma_f32 v[22:23], v[18:19], v[42:43], v[22:23] op_sel_hi:[1,0,1]
	v_mov_b32_e32 v25, v18
	v_pk_fma_f32 v[18:19], v[24:25], v[42:43], v[22:23] op_sel:[0,1,0]
	ds_read2_b64 v[22:25], v28 offset0:128 offset1:160
	v_xor_b32_e32 v38, 0x80000000, v21
	v_pk_fma_f32 v[18:19], v[20:21], v[44:45], v[18:19] op_sel_hi:[1,0,1]
	v_mov_b32_e32 v39, v20
	v_mov_b32_e32 v20, v45
	v_pk_fma_f32 v[18:19], v[38:39], v[20:21], v[18:19] op_sel_hi:[1,0,1]
	s_waitcnt lgkmcnt(0)
	v_xor_b32_e32 v38, 0x80000000, v23
	;; [unrolled: 11-line block ×3, first 2 shown]
	v_pk_fma_f32 v[22:23], v[38:39], v[50:51], v[22:23] op_sel_hi:[1,0,1]
	v_mov_b32_e32 v25, v38
	ds_read_b128 v[18:21], v29 offset:8256
	v_pk_fma_f32 v[38:39], v[24:25], v[50:51], v[22:23] op_sel:[0,1,0]
	ds_read2_b64 v[22:25], v32 offset1:32
	v_xor_b32_e32 v42, 0x80000000, v41
	v_pk_fma_f32 v[38:39], v[40:41], v[52:53], v[38:39] op_sel_hi:[1,0,1]
	v_mov_b32_e32 v43, v40
	v_mov_b32_e32 v40, v53
	v_pk_fma_f32 v[42:43], v[42:43], v[40:41], v[38:39] op_sel_hi:[1,0,1]
	s_waitcnt lgkmcnt(0)
	v_xor_b32_e32 v44, 0x80000000, v23
	ds_read_b128 v[38:41], v29 offset:8272
	v_pk_fma_f32 v[42:43], v[22:23], v[18:19], v[42:43] op_sel_hi:[1,0,1]
	v_mov_b32_e32 v45, v22
	v_pk_fma_f32 v[18:19], v[44:45], v[18:19], v[42:43] op_sel:[0,1,0]
	v_xor_b32_e32 v42, 0x80000000, v25
	v_pk_fma_f32 v[18:19], v[24:25], v[20:21], v[18:19] op_sel_hi:[1,0,1]
	v_mov_b32_e32 v43, v24
	ds_read2_b64 v[22:25], v32 offset0:64 offset1:96
	v_mov_b32_e32 v20, v21
	v_pk_fma_f32 v[46:47], v[42:43], v[20:21], v[18:19] op_sel_hi:[1,0,1]
	ds_read_b128 v[18:21], v29 offset:8288
	ds_read_b128 v[42:45], v29 offset:8304
	s_add_i32 s12, s12, 32
	s_waitcnt lgkmcnt(2)
	v_xor_b32_e32 v48, 0x80000000, v23
	v_pk_fma_f32 v[46:47], v[22:23], v[38:39], v[46:47] op_sel_hi:[1,0,1]
	v_mov_b32_e32 v49, v22
	v_pk_fma_f32 v[22:23], v[48:49], v[38:39], v[46:47] op_sel:[0,1,0]
	ds_read2_b64 v[46:49], v32 offset0:128 offset1:160
	v_xor_b32_e32 v38, 0x80000000, v25
	v_pk_fma_f32 v[22:23], v[24:25], v[40:41], v[22:23] op_sel_hi:[1,0,1]
	v_mov_b32_e32 v39, v24
	v_mov_b32_e32 v24, v41
	v_pk_fma_f32 v[22:23], v[38:39], v[24:25], v[22:23] op_sel_hi:[1,0,1]
	s_waitcnt lgkmcnt(0)
	v_xor_b32_e32 v24, 0x80000000, v47
	v_pk_fma_f32 v[22:23], v[46:47], v[18:19], v[22:23] op_sel_hi:[1,0,1]
	v_mov_b32_e32 v25, v46
	v_pk_fma_f32 v[18:19], v[24:25], v[18:19], v[22:23] op_sel:[0,1,0]
	ds_read2_b64 v[22:25], v32 offset0:192 offset1:224
	v_xor_b32_e32 v38, 0x80000000, v49
	v_pk_fma_f32 v[18:19], v[48:49], v[20:21], v[18:19] op_sel_hi:[1,0,1]
	v_mov_b32_e32 v39, v48
	v_mov_b32_e32 v20, v21
	v_pk_fma_f32 v[18:19], v[38:39], v[20:21], v[18:19] op_sel_hi:[1,0,1]
	s_waitcnt lgkmcnt(0)
	v_xor_b32_e32 v20, 0x80000000, v23
	v_pk_fma_f32 v[18:19], v[22:23], v[42:43], v[18:19] op_sel_hi:[1,0,1]
	v_mov_b32_e32 v21, v22
	v_pk_fma_f32 v[18:19], v[20:21], v[42:43], v[18:19] op_sel:[0,1,0]
	v_xor_b32_e32 v22, 0x80000000, v25
	v_pk_fma_f32 v[42:43], v[24:25], v[44:45], v[18:19] op_sel_hi:[1,0,1]
	ds_read_b128 v[18:21], v29 offset:8320
	ds_read_b128 v[38:41], v29 offset:8336
	ds_read2_b64 v[46:49], v33 offset1:32
	ds_read_b128 v[50:53], v29 offset:8352
	v_mov_b32_e32 v23, v24
	v_mov_b32_e32 v24, v45
	v_pk_fma_f32 v[22:23], v[22:23], v[24:25], v[42:43] op_sel_hi:[1,0,1]
	s_waitcnt lgkmcnt(1)
	v_xor_b32_e32 v24, 0x80000000, v47
	v_pk_fma_f32 v[22:23], v[46:47], v[18:19], v[22:23] op_sel_hi:[1,0,1]
	v_mov_b32_e32 v25, v46
	v_pk_fma_f32 v[18:19], v[24:25], v[18:19], v[22:23] op_sel:[0,1,0]
	ds_read2_b64 v[22:25], v33 offset0:64 offset1:96
	v_xor_b32_e32 v42, 0x80000000, v49
	v_pk_fma_f32 v[18:19], v[48:49], v[20:21], v[18:19] op_sel_hi:[1,0,1]
	v_mov_b32_e32 v43, v48
	v_mov_b32_e32 v20, v21
	v_pk_fma_f32 v[18:19], v[42:43], v[20:21], v[18:19] op_sel_hi:[1,0,1]
	s_waitcnt lgkmcnt(0)
	v_xor_b32_e32 v20, 0x80000000, v23
	v_pk_fma_f32 v[18:19], v[22:23], v[38:39], v[18:19] op_sel_hi:[1,0,1]
	v_mov_b32_e32 v21, v22
	v_pk_fma_f32 v[22:23], v[20:21], v[38:39], v[18:19] op_sel:[0,1,0]
	ds_read2_b64 v[18:21], v33 offset0:128 offset1:160
	v_xor_b32_e32 v38, 0x80000000, v25
	v_pk_fma_f32 v[22:23], v[24:25], v[40:41], v[22:23] op_sel_hi:[1,0,1]
	v_mov_b32_e32 v39, v24
	v_mov_b32_e32 v24, v41
	v_pk_fma_f32 v[38:39], v[38:39], v[24:25], v[22:23] op_sel_hi:[1,0,1]
	s_waitcnt lgkmcnt(0)
	v_xor_b32_e32 v40, 0x80000000, v19
	v_pk_fma_f32 v[38:39], v[18:19], v[50:51], v[38:39] op_sel_hi:[1,0,1]
	v_mov_b32_e32 v41, v18
	ds_read_b128 v[22:25], v29 offset:8368
	v_pk_fma_f32 v[18:19], v[40:41], v[50:51], v[38:39] op_sel:[0,1,0]
	ds_read_b128 v[38:41], v29 offset:8384
	ds_read_b128 v[42:45], v29 offset:8400
	ds_read2_b64 v[46:49], v33 offset0:192 offset1:224
	v_xor_b32_e32 v50, 0x80000000, v21
	v_pk_fma_f32 v[18:19], v[20:21], v[52:53], v[18:19] op_sel_hi:[1,0,1]
	v_mov_b32_e32 v51, v20
	v_mov_b32_e32 v20, v53
	v_pk_fma_f32 v[18:19], v[50:51], v[20:21], v[18:19] op_sel_hi:[1,0,1]
	s_waitcnt lgkmcnt(0)
	v_xor_b32_e32 v20, 0x80000000, v47
	v_pk_fma_f32 v[18:19], v[46:47], v[22:23], v[18:19] op_sel_hi:[1,0,1]
	v_mov_b32_e32 v21, v46
	v_pk_fma_f32 v[22:23], v[20:21], v[22:23], v[18:19] op_sel:[0,1,0]
	ds_read2_b64 v[18:21], v34 offset1:32
	v_xor_b32_e32 v46, 0x80000000, v49
	v_pk_fma_f32 v[22:23], v[48:49], v[24:25], v[22:23] op_sel_hi:[1,0,1]
	v_mov_b32_e32 v47, v48
	v_mov_b32_e32 v24, v25
	v_pk_fma_f32 v[22:23], v[46:47], v[24:25], v[22:23] op_sel_hi:[1,0,1]
	s_waitcnt lgkmcnt(0)
	v_xor_b32_e32 v24, 0x80000000, v19
	v_pk_fma_f32 v[22:23], v[18:19], v[38:39], v[22:23] op_sel_hi:[1,0,1]
	v_mov_b32_e32 v25, v18
	v_pk_fma_f32 v[18:19], v[24:25], v[38:39], v[22:23] op_sel:[0,1,0]
	ds_read2_b64 v[22:25], v34 offset0:64 offset1:96
	v_xor_b32_e32 v38, 0x80000000, v21
	v_pk_fma_f32 v[18:19], v[20:21], v[40:41], v[18:19] op_sel_hi:[1,0,1]
	v_mov_b32_e32 v39, v20
	v_mov_b32_e32 v20, v41
	v_pk_fma_f32 v[18:19], v[38:39], v[20:21], v[18:19] op_sel_hi:[1,0,1]
	s_waitcnt lgkmcnt(0)
	v_xor_b32_e32 v46, 0x80000000, v23
	v_pk_fma_f32 v[48:49], v[22:23], v[42:43], v[18:19] op_sel_hi:[1,0,1]
	v_mov_b32_e32 v47, v22
	ds_read_b128 v[18:21], v29 offset:8416
	ds_read_b128 v[38:41], v29 offset:8432
	v_pk_fma_f32 v[22:23], v[46:47], v[42:43], v[48:49] op_sel:[0,1,0]
	ds_read2_b64 v[46:49], v34 offset0:128 offset1:160
	v_xor_b32_e32 v42, 0x80000000, v25
	v_pk_fma_f32 v[22:23], v[24:25], v[44:45], v[22:23] op_sel_hi:[1,0,1]
	v_mov_b32_e32 v43, v24
	v_mov_b32_e32 v24, v45
	v_pk_fma_f32 v[22:23], v[42:43], v[24:25], v[22:23] op_sel_hi:[1,0,1]
	s_waitcnt lgkmcnt(0)
	v_xor_b32_e32 v24, 0x80000000, v47
	v_pk_fma_f32 v[22:23], v[46:47], v[18:19], v[22:23] op_sel_hi:[1,0,1]
	v_mov_b32_e32 v25, v46
	v_pk_fma_f32 v[18:19], v[24:25], v[18:19], v[22:23] op_sel:[0,1,0]
	ds_read2_b64 v[22:25], v34 offset0:192 offset1:224
	v_xor_b32_e32 v42, 0x80000000, v49
	v_pk_fma_f32 v[18:19], v[48:49], v[20:21], v[18:19] op_sel_hi:[1,0,1]
	v_mov_b32_e32 v43, v48
	v_mov_b32_e32 v20, v21
	v_pk_fma_f32 v[18:19], v[42:43], v[20:21], v[18:19] op_sel_hi:[1,0,1]
	s_waitcnt lgkmcnt(0)
	v_xor_b32_e32 v20, 0x80000000, v23
	v_pk_fma_f32 v[18:19], v[22:23], v[38:39], v[18:19] op_sel_hi:[1,0,1]
	v_mov_b32_e32 v21, v22
	v_pk_fma_f32 v[18:19], v[20:21], v[38:39], v[18:19] op_sel:[0,1,0]
	v_xor_b32_e32 v20, 0x80000000, v25
	v_pk_fma_f32 v[18:19], v[24:25], v[40:41], v[18:19] op_sel_hi:[1,0,1]
	v_mov_b32_e32 v21, v24
	v_mov_b32_e32 v22, v41
	v_pk_fma_f32 v[18:19], v[20:21], v[22:23], v[18:19] op_sel_hi:[1,0,1]
	s_cmp_ge_i32 s12, s33
	s_barrier
	s_cbranch_scc1 .LBB7_10
.LBB7_13:                               ;   Parent Loop BB7_8 Depth=1
                                        ;     Parent Loop BB7_11 Depth=2
                                        ; =>    This Inner Loop Header: Depth=3
	s_and_b64 vcc, exec, s[30:31]
	s_cbranch_vccz .LBB7_19
; %bb.14:                               ;   in Loop: Header=BB7_13 Depth=3
	s_mov_b64 s[38:39], 0
	s_mov_b64 s[36:37], 0
                                        ; implicit-def: $vgpr20_vgpr21
	s_and_saveexec_b64 s[40:41], s[0:1]
	s_cbranch_execz .LBB7_18
; %bb.15:                               ;   in Loop: Header=BB7_13 Depth=3
	v_add_u32_e32 v20, s12, v26
	v_cmp_gt_i32_e32 vcc, s33, v20
                                        ; implicit-def: $vgpr20_vgpr21
	s_and_saveexec_b64 s[42:43], vcc
	s_xor_b64 s[42:43], exec, s[42:43]
; %bb.16:                               ;   in Loop: Header=BB7_13 Depth=3
	v_add_u32_e32 v20, s12, v17
	v_ashrrev_i32_e32 v21, 31, v20
	v_mul_lo_u32 v22, s22, v21
	v_mul_lo_u32 v23, s23, v20
	v_mad_u64_u32 v[20:21], s[48:49], s22, v20, 0
	v_add3_u32 v21, v21, v22, v23
	s_mov_b64 s[36:37], exec
	v_lshl_add_u64 v[20:21], v[20:21], 3, v[0:1]
; %bb.17:                               ;   in Loop: Header=BB7_13 Depth=3
	s_or_b64 exec, exec, s[42:43]
	s_and_b64 s[36:37], s[36:37], exec
.LBB7_18:                               ;   in Loop: Header=BB7_13 Depth=3
	s_or_b64 exec, exec, s[40:41]
	s_and_b64 vcc, exec, s[38:39]
	s_cbranch_vccnz .LBB7_20
	s_branch .LBB7_25
.LBB7_19:                               ;   in Loop: Header=BB7_13 Depth=3
	s_mov_b64 s[36:37], 0
                                        ; implicit-def: $vgpr20_vgpr21
	s_cbranch_execz .LBB7_25
.LBB7_20:                               ;   in Loop: Header=BB7_13 Depth=3
                                        ; implicit-def: $vgpr20_vgpr21
	s_and_saveexec_b64 s[38:39], s[0:1]
	s_cbranch_execz .LBB7_24
; %bb.21:                               ;   in Loop: Header=BB7_13 Depth=3
	v_add_u32_e32 v20, s12, v26
	v_cmp_gt_i32_e32 vcc, s33, v20
	s_mov_b64 s[42:43], s[36:37]
                                        ; implicit-def: $vgpr20_vgpr21
	s_and_saveexec_b64 s[40:41], vcc
; %bb.22:                               ;   in Loop: Header=BB7_13 Depth=3
	v_add_u32_e32 v20, s12, v17
	v_ashrrev_i32_e32 v21, 31, v20
	v_lshl_add_u64 v[20:21], v[20:21], 3, v[6:7]
	s_or_b64 s[42:43], s[36:37], exec
; %bb.23:                               ;   in Loop: Header=BB7_13 Depth=3
	s_or_b64 exec, exec, s[40:41]
	s_andn2_b64 s[36:37], s[36:37], exec
	s_and_b64 s[40:41], s[42:43], exec
	s_or_b64 s[36:37], s[36:37], s[40:41]
.LBB7_24:                               ;   in Loop: Header=BB7_13 Depth=3
	s_or_b64 exec, exec, s[38:39]
.LBB7_25:                               ;   in Loop: Header=BB7_13 Depth=3
	v_mov_b32_e32 v22, 0
	v_mov_b32_e32 v23, 0
	s_and_saveexec_b64 s[38:39], s[36:37]
	s_cbranch_execnz .LBB7_33
; %bb.26:                               ;   in Loop: Header=BB7_13 Depth=3
	s_or_b64 exec, exec, s[38:39]
	s_and_b64 vcc, exec, s[6:7]
	ds_write_b64 v30, v[22:23]
	s_cbranch_vccz .LBB7_34
.LBB7_27:                               ;   in Loop: Header=BB7_13 Depth=3
	s_mov_b64 s[36:37], 0
	s_mov_b64 s[38:39], 0
                                        ; implicit-def: $vgpr20
	s_and_saveexec_b64 s[40:41], s[4:5]
	s_cbranch_execz .LBB7_31
; %bb.28:                               ;   in Loop: Header=BB7_13 Depth=3
	v_add_u32_e32 v21, s12, v27
	v_cmp_gt_i32_e32 vcc, s33, v21
                                        ; implicit-def: $vgpr20
	s_and_saveexec_b64 s[42:43], vcc
	s_xor_b64 s[42:43], exec, s[42:43]
; %bb.29:                               ;   in Loop: Header=BB7_13 Depth=3
	s_mov_b64 s[38:39], exec
	v_mul_lo_u32 v20, v21, s33
; %bb.30:                               ;   in Loop: Header=BB7_13 Depth=3
	s_or_b64 exec, exec, s[42:43]
	s_and_b64 s[38:39], s[38:39], exec
.LBB7_31:                               ;   in Loop: Header=BB7_13 Depth=3
	s_or_b64 exec, exec, s[40:41]
	s_and_b64 vcc, exec, s[36:37]
	s_cbranch_vccz .LBB7_35
.LBB7_32:                               ;   in Loop: Header=BB7_13 Depth=3
	v_add_u32_e32 v20, s12, v27
	v_cmp_gt_i32_e32 vcc, s33, v20
	s_and_b64 s[36:37], s[4:5], vcc
	s_andn2_b64 s[38:39], s[38:39], exec
	s_and_b64 s[36:37], s[36:37], exec
	s_or_b64 s[38:39], s[38:39], s[36:37]
	v_mov_b32_e32 v22, v36
	v_mov_b32_e32 v24, 0
	;; [unrolled: 1-line block ×3, first 2 shown]
	s_and_saveexec_b64 s[36:37], s[38:39]
	s_cbranch_execz .LBB7_12
	s_branch .LBB7_36
.LBB7_33:                               ;   in Loop: Header=BB7_13 Depth=3
	global_load_dwordx2 v[22:23], v[20:21], off
	s_or_b64 exec, exec, s[38:39]
	s_and_b64 vcc, exec, s[6:7]
	s_waitcnt vmcnt(0)
	ds_write_b64 v30, v[22:23]
	s_cbranch_vccnz .LBB7_27
.LBB7_34:                               ;   in Loop: Header=BB7_13 Depth=3
	s_mov_b64 s[38:39], 0
                                        ; implicit-def: $vgpr20
	s_cbranch_execnz .LBB7_32
.LBB7_35:                               ;   in Loop: Header=BB7_13 Depth=3
	v_mov_b32_e32 v22, v35
	v_mov_b32_e32 v24, 0
	;; [unrolled: 1-line block ×3, first 2 shown]
	s_and_saveexec_b64 s[36:37], s[38:39]
	s_cbranch_execz .LBB7_12
.LBB7_36:                               ;   in Loop: Header=BB7_13 Depth=3
	v_ashrrev_i32_e32 v23, 31, v22
	v_lshl_add_u64 v[22:23], v[22:23], 3, s[34:35]
	v_ashrrev_i32_e32 v21, 31, v20
	v_lshl_add_u64 v[20:21], v[20:21], 3, v[22:23]
	global_load_dwordx2 v[24:25], v[20:21], off
	s_branch .LBB7_12
.LBB7_37:                               ;   in Loop: Header=BB7_8 Depth=1
	v_cmp_gt_i32_e32 vcc, s33, v35
	s_and_b64 s[8:9], s[20:21], vcc
	s_and_saveexec_b64 s[4:5], s[8:9]
	s_cbranch_execz .LBB7_7
; %bb.38:                               ;   in Loop: Header=BB7_8 Depth=1
	v_add_u32_e32 v20, s44, v35
	v_ashrrev_i32_e32 v21, 31, v20
	s_and_saveexec_b64 s[8:9], s[24:25]
	s_xor_b64 s[8:9], exec, s[8:9]
	s_cbranch_execz .LBB7_43
; %bb.39:                               ;   in Loop: Header=BB7_8 Depth=1
	s_mov_b64 s[34:35], -1
	s_and_b64 vcc, exec, s[26:27]
	s_cbranch_vccz .LBB7_41
; %bb.40:                               ;   in Loop: Header=BB7_8 Depth=1
	v_mul_lo_u32 v17, s11, v20
	v_mul_lo_u32 v24, s10, v21
	v_mad_u64_u32 v[22:23], s[34:35], s10, v20, 0
	v_add3_u32 v23, v23, v24, v17
	v_lshl_add_u64 v[22:23], v[22:23], 3, v[8:9]
	global_load_dwordx2 v[24:25], v[22:23], off
	v_pk_mul_f32 v[36:37], v[18:19], v[10:11] op_sel:[1,0]
	s_mov_b64 s[34:35], 0
	v_pk_fma_f32 v[36:37], v[2:3], v[18:19], v[36:37] op_sel_hi:[1,0,1]
	s_waitcnt vmcnt(0)
	v_pk_fma_f32 v[36:37], v[4:5], v[24:25], v[36:37] op_sel_hi:[1,0,1]
	s_nop 0
	v_pk_fma_f32 v[24:25], v[12:13], v[24:25], v[36:37] op_sel:[0,1,0]
	global_store_dwordx2 v[22:23], v[24:25], off
.LBB7_41:                               ;   in Loop: Header=BB7_8 Depth=1
	s_andn2_b64 vcc, exec, s[34:35]
	s_cbranch_vccnz .LBB7_43
; %bb.42:                               ;   in Loop: Header=BB7_8 Depth=1
	v_lshl_add_u64 v[20:21], v[20:21], 3, v[14:15]
	global_load_dwordx2 v[22:23], v[20:21], off
	v_pk_mul_f32 v[24:25], v[18:19], v[10:11] op_sel:[1,0]
	s_nop 0
	v_pk_fma_f32 v[18:19], v[2:3], v[18:19], v[24:25] op_sel_hi:[1,0,1]
	s_waitcnt vmcnt(0)
	v_pk_fma_f32 v[18:19], v[4:5], v[22:23], v[18:19] op_sel_hi:[1,0,1]
	s_nop 0
	v_pk_fma_f32 v[18:19], v[12:13], v[22:23], v[18:19] op_sel:[0,1,0]
	global_store_dwordx2 v[20:21], v[18:19], off
                                        ; implicit-def: $vgpr18_vgpr19
                                        ; implicit-def: $vgpr20
.LBB7_43:                               ;   in Loop: Header=BB7_8 Depth=1
	s_andn2_saveexec_b64 s[8:9], s[8:9]
	s_cbranch_execz .LBB7_7
; %bb.44:                               ;   in Loop: Header=BB7_8 Depth=1
	v_pk_mul_f32 v[22:23], v[18:19], v[10:11] op_sel:[1,0]
	s_mov_b64 s[8:9], -1
	v_pk_fma_f32 v[18:19], v[2:3], v[18:19], v[22:23] op_sel_hi:[1,0,1]
	s_and_b64 vcc, exec, s[26:27]
	s_cbranch_vccz .LBB7_46
; %bb.45:                               ;   in Loop: Header=BB7_8 Depth=1
	v_mul_lo_u32 v17, s11, v20
	v_mul_lo_u32 v24, s10, v21
	v_mad_u64_u32 v[22:23], s[8:9], s10, v20, 0
	v_add3_u32 v23, v23, v24, v17
	v_lshl_add_u64 v[22:23], v[22:23], 3, v[8:9]
	global_store_dwordx2 v[22:23], v[18:19], off
	s_mov_b64 s[8:9], 0
.LBB7_46:                               ;   in Loop: Header=BB7_8 Depth=1
	s_andn2_b64 vcc, exec, s[8:9]
	s_cbranch_vccnz .LBB7_7
; %bb.47:                               ;   in Loop: Header=BB7_8 Depth=1
	v_lshl_add_u64 v[20:21], v[20:21], 3, v[14:15]
	global_store_dwordx2 v[20:21], v[18:19], off
	s_branch .LBB7_7
.LBB7_48:
	s_endpgm
	.section	.rodata,"a",@progbits
	.p2align	6, 0x0
	.amdhsa_kernel _ZN9rocsparseL29bsrmm_general_blockdim_kernelILj32ELj32Eli21rocsparse_complex_numIfES2_S2_S2_EEvb20rocsparse_direction_T2_S4_llNS_24const_host_device_scalarIT6_EEPKT1_PKS4_PKT3_S4_PKT4_llS7_PT5_ll16rocsparse_order_21rocsparse_index_base_b
		.amdhsa_group_segment_fixed_size 16384
		.amdhsa_private_segment_fixed_size 0
		.amdhsa_kernarg_size 140
		.amdhsa_user_sgpr_count 2
		.amdhsa_user_sgpr_dispatch_ptr 0
		.amdhsa_user_sgpr_queue_ptr 0
		.amdhsa_user_sgpr_kernarg_segment_ptr 1
		.amdhsa_user_sgpr_dispatch_id 0
		.amdhsa_user_sgpr_kernarg_preload_length 0
		.amdhsa_user_sgpr_kernarg_preload_offset 0
		.amdhsa_user_sgpr_private_segment_size 0
		.amdhsa_uses_dynamic_stack 0
		.amdhsa_enable_private_segment 0
		.amdhsa_system_sgpr_workgroup_id_x 1
		.amdhsa_system_sgpr_workgroup_id_y 1
		.amdhsa_system_sgpr_workgroup_id_z 0
		.amdhsa_system_sgpr_workgroup_info 0
		.amdhsa_system_vgpr_workitem_id 1
		.amdhsa_next_free_vgpr 54
		.amdhsa_next_free_sgpr 50
		.amdhsa_accum_offset 56
		.amdhsa_reserve_vcc 1
		.amdhsa_float_round_mode_32 0
		.amdhsa_float_round_mode_16_64 0
		.amdhsa_float_denorm_mode_32 3
		.amdhsa_float_denorm_mode_16_64 3
		.amdhsa_dx10_clamp 1
		.amdhsa_ieee_mode 1
		.amdhsa_fp16_overflow 0
		.amdhsa_tg_split 0
		.amdhsa_exception_fp_ieee_invalid_op 0
		.amdhsa_exception_fp_denorm_src 0
		.amdhsa_exception_fp_ieee_div_zero 0
		.amdhsa_exception_fp_ieee_overflow 0
		.amdhsa_exception_fp_ieee_underflow 0
		.amdhsa_exception_fp_ieee_inexact 0
		.amdhsa_exception_int_div_zero 0
	.end_amdhsa_kernel
	.section	.text._ZN9rocsparseL29bsrmm_general_blockdim_kernelILj32ELj32Eli21rocsparse_complex_numIfES2_S2_S2_EEvb20rocsparse_direction_T2_S4_llNS_24const_host_device_scalarIT6_EEPKT1_PKS4_PKT3_S4_PKT4_llS7_PT5_ll16rocsparse_order_21rocsparse_index_base_b,"axG",@progbits,_ZN9rocsparseL29bsrmm_general_blockdim_kernelILj32ELj32Eli21rocsparse_complex_numIfES2_S2_S2_EEvb20rocsparse_direction_T2_S4_llNS_24const_host_device_scalarIT6_EEPKT1_PKS4_PKT3_S4_PKT4_llS7_PT5_ll16rocsparse_order_21rocsparse_index_base_b,comdat
.Lfunc_end7:
	.size	_ZN9rocsparseL29bsrmm_general_blockdim_kernelILj32ELj32Eli21rocsparse_complex_numIfES2_S2_S2_EEvb20rocsparse_direction_T2_S4_llNS_24const_host_device_scalarIT6_EEPKT1_PKS4_PKT3_S4_PKT4_llS7_PT5_ll16rocsparse_order_21rocsparse_index_base_b, .Lfunc_end7-_ZN9rocsparseL29bsrmm_general_blockdim_kernelILj32ELj32Eli21rocsparse_complex_numIfES2_S2_S2_EEvb20rocsparse_direction_T2_S4_llNS_24const_host_device_scalarIT6_EEPKT1_PKS4_PKT3_S4_PKT4_llS7_PT5_ll16rocsparse_order_21rocsparse_index_base_b
                                        ; -- End function
	.set _ZN9rocsparseL29bsrmm_general_blockdim_kernelILj32ELj32Eli21rocsparse_complex_numIfES2_S2_S2_EEvb20rocsparse_direction_T2_S4_llNS_24const_host_device_scalarIT6_EEPKT1_PKS4_PKT3_S4_PKT4_llS7_PT5_ll16rocsparse_order_21rocsparse_index_base_b.num_vgpr, 54
	.set _ZN9rocsparseL29bsrmm_general_blockdim_kernelILj32ELj32Eli21rocsparse_complex_numIfES2_S2_S2_EEvb20rocsparse_direction_T2_S4_llNS_24const_host_device_scalarIT6_EEPKT1_PKS4_PKT3_S4_PKT4_llS7_PT5_ll16rocsparse_order_21rocsparse_index_base_b.num_agpr, 0
	.set _ZN9rocsparseL29bsrmm_general_blockdim_kernelILj32ELj32Eli21rocsparse_complex_numIfES2_S2_S2_EEvb20rocsparse_direction_T2_S4_llNS_24const_host_device_scalarIT6_EEPKT1_PKS4_PKT3_S4_PKT4_llS7_PT5_ll16rocsparse_order_21rocsparse_index_base_b.numbered_sgpr, 50
	.set _ZN9rocsparseL29bsrmm_general_blockdim_kernelILj32ELj32Eli21rocsparse_complex_numIfES2_S2_S2_EEvb20rocsparse_direction_T2_S4_llNS_24const_host_device_scalarIT6_EEPKT1_PKS4_PKT3_S4_PKT4_llS7_PT5_ll16rocsparse_order_21rocsparse_index_base_b.num_named_barrier, 0
	.set _ZN9rocsparseL29bsrmm_general_blockdim_kernelILj32ELj32Eli21rocsparse_complex_numIfES2_S2_S2_EEvb20rocsparse_direction_T2_S4_llNS_24const_host_device_scalarIT6_EEPKT1_PKS4_PKT3_S4_PKT4_llS7_PT5_ll16rocsparse_order_21rocsparse_index_base_b.private_seg_size, 0
	.set _ZN9rocsparseL29bsrmm_general_blockdim_kernelILj32ELj32Eli21rocsparse_complex_numIfES2_S2_S2_EEvb20rocsparse_direction_T2_S4_llNS_24const_host_device_scalarIT6_EEPKT1_PKS4_PKT3_S4_PKT4_llS7_PT5_ll16rocsparse_order_21rocsparse_index_base_b.uses_vcc, 1
	.set _ZN9rocsparseL29bsrmm_general_blockdim_kernelILj32ELj32Eli21rocsparse_complex_numIfES2_S2_S2_EEvb20rocsparse_direction_T2_S4_llNS_24const_host_device_scalarIT6_EEPKT1_PKS4_PKT3_S4_PKT4_llS7_PT5_ll16rocsparse_order_21rocsparse_index_base_b.uses_flat_scratch, 0
	.set _ZN9rocsparseL29bsrmm_general_blockdim_kernelILj32ELj32Eli21rocsparse_complex_numIfES2_S2_S2_EEvb20rocsparse_direction_T2_S4_llNS_24const_host_device_scalarIT6_EEPKT1_PKS4_PKT3_S4_PKT4_llS7_PT5_ll16rocsparse_order_21rocsparse_index_base_b.has_dyn_sized_stack, 0
	.set _ZN9rocsparseL29bsrmm_general_blockdim_kernelILj32ELj32Eli21rocsparse_complex_numIfES2_S2_S2_EEvb20rocsparse_direction_T2_S4_llNS_24const_host_device_scalarIT6_EEPKT1_PKS4_PKT3_S4_PKT4_llS7_PT5_ll16rocsparse_order_21rocsparse_index_base_b.has_recursion, 0
	.set _ZN9rocsparseL29bsrmm_general_blockdim_kernelILj32ELj32Eli21rocsparse_complex_numIfES2_S2_S2_EEvb20rocsparse_direction_T2_S4_llNS_24const_host_device_scalarIT6_EEPKT1_PKS4_PKT3_S4_PKT4_llS7_PT5_ll16rocsparse_order_21rocsparse_index_base_b.has_indirect_call, 0
	.section	.AMDGPU.csdata,"",@progbits
; Kernel info:
; codeLenInByte = 2928
; TotalNumSgprs: 56
; NumVgprs: 54
; NumAgprs: 0
; TotalNumVgprs: 54
; ScratchSize: 0
; MemoryBound: 0
; FloatMode: 240
; IeeeMode: 1
; LDSByteSize: 16384 bytes/workgroup (compile time only)
; SGPRBlocks: 6
; VGPRBlocks: 6
; NumSGPRsForWavesPerEU: 56
; NumVGPRsForWavesPerEU: 54
; AccumOffset: 56
; Occupancy: 8
; WaveLimiterHint : 0
; COMPUTE_PGM_RSRC2:SCRATCH_EN: 0
; COMPUTE_PGM_RSRC2:USER_SGPR: 2
; COMPUTE_PGM_RSRC2:TRAP_HANDLER: 0
; COMPUTE_PGM_RSRC2:TGID_X_EN: 1
; COMPUTE_PGM_RSRC2:TGID_Y_EN: 1
; COMPUTE_PGM_RSRC2:TGID_Z_EN: 0
; COMPUTE_PGM_RSRC2:TIDIG_COMP_CNT: 1
; COMPUTE_PGM_RSRC3_GFX90A:ACCUM_OFFSET: 13
; COMPUTE_PGM_RSRC3_GFX90A:TG_SPLIT: 0
	.section	.text._ZN9rocsparseL29bsrmm_general_blockdim_kernelILj32ELj32Ell21rocsparse_complex_numIfES2_S2_S2_EEvb20rocsparse_direction_T2_S4_llNS_24const_host_device_scalarIT6_EEPKT1_PKS4_PKT3_S4_PKT4_llS7_PT5_ll16rocsparse_order_21rocsparse_index_base_b,"axG",@progbits,_ZN9rocsparseL29bsrmm_general_blockdim_kernelILj32ELj32Ell21rocsparse_complex_numIfES2_S2_S2_EEvb20rocsparse_direction_T2_S4_llNS_24const_host_device_scalarIT6_EEPKT1_PKS4_PKT3_S4_PKT4_llS7_PT5_ll16rocsparse_order_21rocsparse_index_base_b,comdat
	.globl	_ZN9rocsparseL29bsrmm_general_blockdim_kernelILj32ELj32Ell21rocsparse_complex_numIfES2_S2_S2_EEvb20rocsparse_direction_T2_S4_llNS_24const_host_device_scalarIT6_EEPKT1_PKS4_PKT3_S4_PKT4_llS7_PT5_ll16rocsparse_order_21rocsparse_index_base_b ; -- Begin function _ZN9rocsparseL29bsrmm_general_blockdim_kernelILj32ELj32Ell21rocsparse_complex_numIfES2_S2_S2_EEvb20rocsparse_direction_T2_S4_llNS_24const_host_device_scalarIT6_EEPKT1_PKS4_PKT3_S4_PKT4_llS7_PT5_ll16rocsparse_order_21rocsparse_index_base_b
	.p2align	8
	.type	_ZN9rocsparseL29bsrmm_general_blockdim_kernelILj32ELj32Ell21rocsparse_complex_numIfES2_S2_S2_EEvb20rocsparse_direction_T2_S4_llNS_24const_host_device_scalarIT6_EEPKT1_PKS4_PKT3_S4_PKT4_llS7_PT5_ll16rocsparse_order_21rocsparse_index_base_b,@function
_ZN9rocsparseL29bsrmm_general_blockdim_kernelILj32ELj32Ell21rocsparse_complex_numIfES2_S2_S2_EEvb20rocsparse_direction_T2_S4_llNS_24const_host_device_scalarIT6_EEPKT1_PKS4_PKT3_S4_PKT4_llS7_PT5_ll16rocsparse_order_21rocsparse_index_base_b: ; @_ZN9rocsparseL29bsrmm_general_blockdim_kernelILj32ELj32Ell21rocsparse_complex_numIfES2_S2_S2_EEvb20rocsparse_direction_T2_S4_llNS_24const_host_device_scalarIT6_EEPKT1_PKS4_PKT3_S4_PKT4_llS7_PT5_ll16rocsparse_order_21rocsparse_index_base_b
; %bb.0:
	s_load_dwordx2 s[4:5], s[0:1], 0x28
	s_load_dwordx4 s[20:23], s[0:1], 0x88
	s_mov_b32 s8, s3
	s_add_u32 s3, s0, 40
	s_addc_u32 s9, s1, 0
	s_load_dwordx2 s[6:7], s[0:1], 0x68
	s_add_u32 s10, s0, 0x68
	s_addc_u32 s11, s1, 0
	s_waitcnt lgkmcnt(0)
	s_bitcmp1_b32 s22, 0
	s_cselect_b32 s3, s3, s4
	s_cselect_b32 s5, s9, s5
	v_mov_b32_e32 v2, s3
	s_cselect_b32 s3, s11, s7
	s_cselect_b32 s4, s10, s6
	v_mov_b32_e32 v3, s5
	v_mov_b32_e32 v4, s4
	;; [unrolled: 1-line block ×3, first 2 shown]
	flat_load_dwordx2 v[2:3], v[2:3]
	s_waitcnt vmcnt(0) lgkmcnt(0)
	v_cmp_eq_f32_e32 vcc, 0, v2
	flat_load_dwordx2 v[4:5], v[4:5]
	v_cmp_eq_f32_e64 s[6:7], 0, v3
	s_and_b64 s[6:7], vcc, s[6:7]
	s_waitcnt vmcnt(0) lgkmcnt(0)
	v_cmp_eq_f32_e64 s[10:11], 1.0, v4
	v_cmp_eq_f32_e64 s[4:5], 0, v5
	s_and_b64 s[10:11], s[10:11], s[4:5]
	s_and_b64 s[6:7], s[6:7], s[10:11]
	s_xor_b64 s[6:7], s[6:7], -1
	s_and_saveexec_b64 s[10:11], s[6:7]
	s_cbranch_execz .LBB8_48
; %bb.1:
	s_load_dwordx4 s[24:27], s[0:1], 0x8
	s_load_dwordx2 s[10:11], s[0:1], 0x30
	s_ashr_i32 s3, s2, 31
	v_mov_b64_e32 v[6:7], s[2:3]
	s_mov_b64 s[22:23], 0
	s_waitcnt lgkmcnt(0)
	v_cmp_le_i64_e32 vcc, s[24:25], v[6:7]
	v_cmp_gt_i64_e64 s[6:7], s[24:25], v[6:7]
	s_mov_b64 s[24:25], 0
	s_cbranch_vccz .LBB8_4
; %bb.2:
	s_andn2_b64 vcc, exec, s[6:7]
	s_cbranch_vccz .LBB8_5
.LBB8_3:
	s_load_dwordx2 s[28:29], s[0:1], 0x48
	s_waitcnt lgkmcnt(0)
	v_cmp_lt_i64_e64 s[10:11], s[28:29], 1
	s_and_b64 vcc, exec, s[10:11]
	s_cbranch_vccz .LBB8_6
	s_branch .LBB8_48
.LBB8_4:
	s_lshl_b64 s[12:13], s[2:3], 3
	s_add_u32 s12, s10, s12
	s_addc_u32 s13, s11, s13
	s_load_dwordx2 s[12:13], s[12:13], 0x0
	s_waitcnt lgkmcnt(0)
	s_sub_u32 s24, s12, s21
	s_subb_u32 s25, s13, 0
	s_andn2_b64 vcc, exec, s[6:7]
	s_cbranch_vccnz .LBB8_3
.LBB8_5:
	s_lshl_b64 s[12:13], s[2:3], 3
	s_add_u32 s10, s10, s12
	s_addc_u32 s11, s11, s13
	s_load_dwordx2 s[10:11], s[10:11], 0x8
	s_waitcnt lgkmcnt(0)
	s_sub_u32 s22, s10, s21
	s_subb_u32 s23, s11, 0
	s_load_dwordx2 s[28:29], s[0:1], 0x48
	s_waitcnt lgkmcnt(0)
	v_cmp_lt_i64_e64 s[10:11], s[28:29], 1
	s_and_b64 vcc, exec, s[10:11]
	s_cbranch_vccnz .LBB8_48
.LBB8_6:
	v_bfe_u32 v6, v0, 10, 10
	s_load_dwordx4 s[12:15], s[0:1], 0x70
	s_load_dwordx4 s[16:19], s[0:1], 0x50
	v_lshl_add_u32 v22, s8, 5, v6
	s_load_dwordx4 s[8:11], s[0:1], 0x38
	s_load_dwordx2 s[38:39], s[0:1], 0x0
	v_mov_b32_e32 v8, 0
	v_mov_b32_e32 v23, v8
	s_mul_i32 s34, s28, s2
	v_cmp_neq_f32_e32 vcc, 0, v4
	s_waitcnt lgkmcnt(0)
	s_bitcmp1_b32 s38, 0
	s_cselect_b64 s[0:1], -1, 0
	s_xor_b64 s[30:31], s[0:1], -1
	s_mul_i32 s0, s29, s2
	s_mul_hi_u32 s1, s28, s2
	s_add_i32 s35, s1, s0
	s_mul_i32 s0, s28, s29
	s_mul_hi_u32 s1, s28, s28
	s_add_i32 s1, s1, s0
	s_add_i32 s37, s1, s0
	s_cmp_lg_u32 s39, 0
	v_cmp_gt_i64_e64 s[0:1], s[26:27], v[22:23]
	s_cselect_b64 s[26:27], -1, 0
	s_xor_b64 s[2:3], s[4:5], -1
	s_or_b64 s[38:39], vcc, s[2:3]
	v_mad_u64_u32 v[20:21], s[2:3], s14, v22, 0
	v_mov_b32_e32 v24, v21
	v_mad_u64_u32 v[24:25], s[2:3], s15, v22, v[24:25]
	v_mov_b32_e32 v21, v24
	;; [unrolled: 2-line block ×3, first 2 shown]
	v_lshlrev_b64 v[12:13], 3, v[22:23]
	s_and_b64 s[6:7], s[6:7], s[0:1]
	v_mad_u64_u32 v[22:23], s[2:3], s19, v22, v[28:29]
	s_cmp_lg_u32 s20, 1
	s_mul_i32 s2, s24, s29
	s_mul_hi_u32 s3, s24, s28
	v_and_b32_e32 v0, 0x3ff, v0
	s_mov_b32 s33, s21
	s_cselect_b64 s[20:21], -1, 0
	s_add_i32 s2, s3, s2
	s_mul_i32 s3, s25, s28
	v_lshlrev_b32_e32 v14, 3, v0
	v_mov_b32_e32 v25, v22
	v_mov_b32_e32 v15, v8
	s_add_i32 s3, s2, s3
	s_mul_i32 s2, s24, s28
	v_mov_b64_e32 v[26:27], s[22:23]
	v_lshl_add_u64 v[22:23], v[24:25], 3, v[14:15]
	v_lshl_add_u64 v[24:25], s[2:3], 3, v[14:15]
	v_lshlrev_b32_e32 v28, 3, v6
	v_mov_b32_e32 v29, v8
	v_mul_lo_u32 v15, s28, v25
	v_mul_lo_u32 v30, s29, v24
	v_mad_u64_u32 v[24:25], s[2:3], s28, v24, v[28:29]
	v_cmp_lt_i64_e32 vcc, s[24:25], v[26:27]
	s_mul_i32 s36, s28, s28
	v_or_b32_e32 v9, 0x2000, v14
	v_lshlrev_b32_e32 v44, 8, v6
	v_add3_u32 v25, v30, v25, v15
	v_cndmask_b32_e64 v15, 0, 1, vcc
	v_lshl_add_u64 v[10:11], s[12:13], 0, v[12:13]
	v_mov_b32_e32 v1, v8
	v_lshl_add_u64 v[12:13], s[16:17], 0, v[12:13]
	v_mov_b32_e32 v7, v8
	v_xor_b32_e32 v16, 0x80000000, v3
	v_xor_b32_e32 v18, 0x80000000, v5
	v_lshl_add_u64 v[20:21], v[20:21], 3, s[12:13]
	v_mov_b32_e32 v17, v2
	v_mov_b32_e32 v19, v4
	v_lshl_add_u64 v[22:23], s[16:17], 0, v[22:23]
	s_lshl_b64 s[12:13], s[28:29], 3
	v_lshl_add_u64 v[24:25], s[10:11], 0, v[24:25]
	s_lshl_b64 s[16:17], s[28:29], 8
	s_lshl_b64 s[40:41], s[36:37], 3
	s_mov_b64 s[42:43], 0
	v_cmp_ne_u32_e64 s[2:3], 1, v15
	v_add_u32_e32 v15, v9, v44
	v_add_u32_e32 v45, v14, v44
	s_mov_b64 s[44:45], 0x100
	v_add_u32_e32 v46, 0x800, v14
	v_add_u32_e32 v47, 0x1000, v14
	;; [unrolled: 1-line block ×3, first 2 shown]
	s_branch .LBB8_8
.LBB8_7:                                ;   in Loop: Header=BB8_8 Depth=1
	s_or_b64 exec, exec, s[4:5]
	s_add_u32 s42, s42, 32
	s_addc_u32 s43, s43, 0
	v_mov_b64_e32 v[26:27], s[28:29]
	v_cmp_lt_i64_e32 vcc, s[42:43], v[26:27]
	v_lshl_add_u64 v[24:25], v[24:25], 0, s[16:17]
	s_cbranch_vccz .LBB8_48
.LBB8_8:                                ; =>This Loop Header: Depth=1
                                        ;     Child Loop BB8_11 Depth 2
                                        ;       Child Loop BB8_13 Depth 3
	v_lshl_add_u64 v[26:27], s[42:43], 0, v[0:1]
	s_and_b64 vcc, exec, s[2:3]
	v_cmp_gt_i64_e64 s[4:5], s[28:29], v[26:27]
	v_mov_b32_e32 v39, 0
	v_mov_b32_e32 v38, 0
	s_cbranch_vccnz .LBB8_37
; %bb.9:                                ;   in Loop: Header=BB8_8 Depth=1
	v_mov_b32_e32 v9, v8
	v_lshl_add_u64 v[28:29], v[26:27], 3, s[10:11]
	v_mov_b64_e32 v[30:31], v[24:25]
	s_mov_b64 s[46:47], s[24:25]
	v_mov_b64_e32 v[38:39], v[8:9]
	s_branch .LBB8_11
.LBB8_10:                               ;   in Loop: Header=BB8_11 Depth=2
	s_add_u32 s46, s46, 1
	s_addc_u32 s47, s47, 0
	v_mov_b64_e32 v[32:33], s[22:23]
	v_cmp_ge_i64_e32 vcc, s[46:47], v[32:33]
	v_lshl_add_u64 v[30:31], v[30:31], 0, s[40:41]
	s_cbranch_vccnz .LBB8_37
.LBB8_11:                               ;   Parent Loop BB8_8 Depth=1
                                        ; =>  This Loop Header: Depth=2
                                        ;       Child Loop BB8_13 Depth 3
	s_mul_i32 s48, s36, s47
	s_mul_hi_u32 s49, s36, s46
	s_add_i32 s48, s49, s48
	s_mul_i32 s49, s37, s46
	s_add_i32 s51, s48, s49
	s_lshl_b64 s[48:49], s[46:47], 3
	s_add_u32 s48, s8, s48
	s_addc_u32 s49, s9, s49
	s_load_dwordx2 s[48:49], s[48:49], 0x0
	s_mul_i32 s50, s36, s46
	v_lshl_add_u64 v[32:33], s[50:51], 3, v[28:29]
	v_mov_b64_e32 v[36:37], v[30:31]
	s_waitcnt lgkmcnt(0)
	s_sub_u32 s52, s48, s33
	s_subb_u32 s53, s49, 0
	s_mul_i32 s48, s52, s29
	s_mul_hi_u32 s49, s52, s28
	s_mul_i32 s50, s13, s52
	s_mul_i32 s51, s12, s53
	v_mov_b32_e32 v9, s52
	s_add_i32 s48, s49, s48
	s_mul_i32 s49, s53, s28
	s_add_i32 s53, s51, s50
	v_mad_u64_u32 v[34:35], s[50:51], s12, v9, v[22:23]
	s_add_i32 s49, s48, s49
	s_mul_i32 s48, s52, s28
	v_add_u32_e32 v35, s53, v35
	s_mov_b64 s[50:51], 0
	s_branch .LBB8_13
.LBB8_12:                               ;   in Loop: Header=BB8_13 Depth=3
	s_or_b64 exec, exec, s[54:55]
	s_waitcnt vmcnt(0)
	ds_write_b64 v45, v[42:43]
	s_waitcnt lgkmcnt(0)
	s_barrier
	ds_read2_b64 v[40:43], v14 offset1:32
	ds_read_b128 v[50:53], v44 offset:8192
	ds_read_b128 v[54:57], v44 offset:8208
	;; [unrolled: 1-line block ×4, first 2 shown]
	s_waitcnt lgkmcnt(4)
	v_xor_b32_e32 v66, 0x80000000, v41
	s_waitcnt lgkmcnt(3)
	v_pk_fma_f32 v[38:39], v[40:41], v[50:51], v[38:39] op_sel_hi:[1,0,1]
	v_mov_b32_e32 v67, v40
	v_pk_fma_f32 v[50:51], v[66:67], v[50:51], v[38:39] op_sel:[0,1,0]
	ds_read2_b64 v[38:41], v14 offset0:64 offset1:96
	v_xor_b32_e32 v66, 0x80000000, v43
	v_pk_fma_f32 v[50:51], v[42:43], v[52:53], v[50:51] op_sel_hi:[1,0,1]
	v_mov_b32_e32 v67, v42
	v_mov_b32_e32 v42, v53
	v_pk_fma_f32 v[42:43], v[66:67], v[42:43], v[50:51] op_sel_hi:[1,0,1]
	s_waitcnt lgkmcnt(0)
	v_xor_b32_e32 v50, 0x80000000, v39
	v_pk_fma_f32 v[42:43], v[38:39], v[54:55], v[42:43] op_sel_hi:[1,0,1]
	v_mov_b32_e32 v51, v38
	v_pk_fma_f32 v[38:39], v[50:51], v[54:55], v[42:43] op_sel:[0,1,0]
	ds_read2_b64 v[50:53], v14 offset0:128 offset1:160
	v_xor_b32_e32 v42, 0x80000000, v41
	v_pk_fma_f32 v[38:39], v[40:41], v[56:57], v[38:39] op_sel_hi:[1,0,1]
	v_mov_b32_e32 v43, v40
	v_mov_b32_e32 v40, v57
	v_pk_fma_f32 v[38:39], v[42:43], v[40:41], v[38:39] op_sel_hi:[1,0,1]
	s_waitcnt lgkmcnt(0)
	v_xor_b32_e32 v42, 0x80000000, v51
	;; [unrolled: 11-line block ×3, first 2 shown]
	v_pk_fma_f32 v[42:43], v[54:55], v[62:63], v[42:43] op_sel_hi:[1,0,1]
	v_mov_b32_e32 v51, v54
	ds_read_b128 v[38:41], v44 offset:8256
	v_pk_fma_f32 v[42:43], v[50:51], v[62:63], v[42:43] op_sel:[0,1,0]
	ds_read2_b64 v[50:53], v46 offset1:32
	v_xor_b32_e32 v54, 0x80000000, v57
	v_pk_fma_f32 v[42:43], v[56:57], v[64:65], v[42:43] op_sel_hi:[1,0,1]
	v_mov_b32_e32 v55, v56
	v_mov_b32_e32 v56, v65
	v_pk_fma_f32 v[42:43], v[54:55], v[56:57], v[42:43] op_sel_hi:[1,0,1]
	s_waitcnt lgkmcnt(0)
	v_xor_b32_e32 v58, 0x80000000, v51
	ds_read_b128 v[54:57], v44 offset:8272
	v_pk_fma_f32 v[42:43], v[50:51], v[38:39], v[42:43] op_sel_hi:[1,0,1]
	v_mov_b32_e32 v59, v50
	v_pk_fma_f32 v[38:39], v[58:59], v[38:39], v[42:43] op_sel:[0,1,0]
	v_xor_b32_e32 v42, 0x80000000, v53
	v_pk_fma_f32 v[38:39], v[52:53], v[40:41], v[38:39] op_sel_hi:[1,0,1]
	v_mov_b32_e32 v43, v52
	ds_read2_b64 v[50:53], v46 offset0:64 offset1:96
	v_mov_b32_e32 v40, v41
	v_pk_fma_f32 v[42:43], v[42:43], v[40:41], v[38:39] op_sel_hi:[1,0,1]
	ds_read_b128 v[38:41], v44 offset:8288
	ds_read_b128 v[58:61], v44 offset:8304
	s_add_u32 s50, s50, 32
	s_waitcnt lgkmcnt(2)
	v_xor_b32_e32 v62, 0x80000000, v51
	v_pk_fma_f32 v[42:43], v[50:51], v[54:55], v[42:43] op_sel_hi:[1,0,1]
	v_mov_b32_e32 v63, v50
	v_pk_fma_f32 v[42:43], v[62:63], v[54:55], v[42:43] op_sel:[0,1,0]
	ds_read2_b64 v[62:65], v46 offset0:128 offset1:160
	v_xor_b32_e32 v50, 0x80000000, v53
	v_pk_fma_f32 v[42:43], v[52:53], v[56:57], v[42:43] op_sel_hi:[1,0,1]
	v_mov_b32_e32 v51, v52
	v_mov_b32_e32 v52, v57
	v_pk_fma_f32 v[42:43], v[50:51], v[52:53], v[42:43] op_sel_hi:[1,0,1]
	s_waitcnt lgkmcnt(0)
	v_xor_b32_e32 v50, 0x80000000, v63
	v_pk_fma_f32 v[42:43], v[62:63], v[38:39], v[42:43] op_sel_hi:[1,0,1]
	v_mov_b32_e32 v51, v62
	v_pk_fma_f32 v[38:39], v[50:51], v[38:39], v[42:43] op_sel:[0,1,0]
	ds_read2_b64 v[50:53], v46 offset0:192 offset1:224
	v_xor_b32_e32 v42, 0x80000000, v65
	v_pk_fma_f32 v[38:39], v[64:65], v[40:41], v[38:39] op_sel_hi:[1,0,1]
	v_mov_b32_e32 v43, v64
	v_mov_b32_e32 v40, v41
	v_pk_fma_f32 v[38:39], v[42:43], v[40:41], v[38:39] op_sel_hi:[1,0,1]
	s_waitcnt lgkmcnt(0)
	v_xor_b32_e32 v40, 0x80000000, v51
	v_pk_fma_f32 v[38:39], v[50:51], v[58:59], v[38:39] op_sel_hi:[1,0,1]
	v_mov_b32_e32 v41, v50
	v_pk_fma_f32 v[38:39], v[40:41], v[58:59], v[38:39] op_sel:[0,1,0]
	v_xor_b32_e32 v42, 0x80000000, v53
	v_pk_fma_f32 v[50:51], v[52:53], v[60:61], v[38:39] op_sel_hi:[1,0,1]
	ds_read_b128 v[38:41], v44 offset:8320
	ds_read_b128 v[54:57], v44 offset:8336
	ds_read2_b64 v[62:65], v47 offset1:32
	ds_read_b128 v[66:69], v44 offset:8352
	v_mov_b32_e32 v43, v52
	v_mov_b32_e32 v52, v61
	v_pk_fma_f32 v[42:43], v[42:43], v[52:53], v[50:51] op_sel_hi:[1,0,1]
	s_waitcnt lgkmcnt(1)
	v_xor_b32_e32 v50, 0x80000000, v63
	v_pk_fma_f32 v[42:43], v[62:63], v[38:39], v[42:43] op_sel_hi:[1,0,1]
	v_mov_b32_e32 v51, v62
	v_pk_fma_f32 v[38:39], v[50:51], v[38:39], v[42:43] op_sel:[0,1,0]
	ds_read2_b64 v[50:53], v47 offset0:64 offset1:96
	v_xor_b32_e32 v42, 0x80000000, v65
	v_pk_fma_f32 v[38:39], v[64:65], v[40:41], v[38:39] op_sel_hi:[1,0,1]
	v_mov_b32_e32 v43, v64
	v_mov_b32_e32 v40, v41
	v_pk_fma_f32 v[38:39], v[42:43], v[40:41], v[38:39] op_sel_hi:[1,0,1]
	s_waitcnt lgkmcnt(0)
	v_xor_b32_e32 v40, 0x80000000, v51
	v_pk_fma_f32 v[38:39], v[50:51], v[54:55], v[38:39] op_sel_hi:[1,0,1]
	v_mov_b32_e32 v41, v50
	v_pk_fma_f32 v[42:43], v[40:41], v[54:55], v[38:39] op_sel:[0,1,0]
	ds_read2_b64 v[38:41], v47 offset0:128 offset1:160
	v_xor_b32_e32 v50, 0x80000000, v53
	v_pk_fma_f32 v[42:43], v[52:53], v[56:57], v[42:43] op_sel_hi:[1,0,1]
	v_mov_b32_e32 v51, v52
	v_mov_b32_e32 v52, v57
	v_pk_fma_f32 v[42:43], v[50:51], v[52:53], v[42:43] op_sel_hi:[1,0,1]
	s_waitcnt lgkmcnt(0)
	v_xor_b32_e32 v54, 0x80000000, v39
	v_pk_fma_f32 v[42:43], v[38:39], v[66:67], v[42:43] op_sel_hi:[1,0,1]
	v_mov_b32_e32 v55, v38
	ds_read_b128 v[50:53], v44 offset:8368
	v_pk_fma_f32 v[38:39], v[54:55], v[66:67], v[42:43] op_sel:[0,1,0]
	ds_read_b128 v[54:57], v44 offset:8384
	ds_read_b128 v[58:61], v44 offset:8400
	ds_read2_b64 v[62:65], v47 offset0:192 offset1:224
	v_xor_b32_e32 v42, 0x80000000, v41
	v_pk_fma_f32 v[38:39], v[40:41], v[68:69], v[38:39] op_sel_hi:[1,0,1]
	v_mov_b32_e32 v43, v40
	v_mov_b32_e32 v40, v69
	v_pk_fma_f32 v[38:39], v[42:43], v[40:41], v[38:39] op_sel_hi:[1,0,1]
	s_waitcnt lgkmcnt(0)
	v_xor_b32_e32 v40, 0x80000000, v63
	v_pk_fma_f32 v[38:39], v[62:63], v[50:51], v[38:39] op_sel_hi:[1,0,1]
	v_mov_b32_e32 v41, v62
	v_pk_fma_f32 v[42:43], v[40:41], v[50:51], v[38:39] op_sel:[0,1,0]
	ds_read2_b64 v[38:41], v48 offset1:32
	v_xor_b32_e32 v50, 0x80000000, v65
	v_pk_fma_f32 v[42:43], v[64:65], v[52:53], v[42:43] op_sel_hi:[1,0,1]
	v_mov_b32_e32 v51, v64
	v_mov_b32_e32 v52, v53
	v_pk_fma_f32 v[42:43], v[50:51], v[52:53], v[42:43] op_sel_hi:[1,0,1]
	s_waitcnt lgkmcnt(0)
	v_xor_b32_e32 v50, 0x80000000, v39
	v_pk_fma_f32 v[42:43], v[38:39], v[54:55], v[42:43] op_sel_hi:[1,0,1]
	v_mov_b32_e32 v51, v38
	v_pk_fma_f32 v[38:39], v[50:51], v[54:55], v[42:43] op_sel:[0,1,0]
	ds_read2_b64 v[50:53], v48 offset0:64 offset1:96
	v_xor_b32_e32 v42, 0x80000000, v41
	v_pk_fma_f32 v[38:39], v[40:41], v[56:57], v[38:39] op_sel_hi:[1,0,1]
	v_mov_b32_e32 v43, v40
	v_mov_b32_e32 v40, v57
	v_pk_fma_f32 v[38:39], v[42:43], v[40:41], v[38:39] op_sel_hi:[1,0,1]
	s_waitcnt lgkmcnt(0)
	v_xor_b32_e32 v42, 0x80000000, v51
	v_pk_fma_f32 v[62:63], v[50:51], v[58:59], v[38:39] op_sel_hi:[1,0,1]
	v_mov_b32_e32 v43, v50
	ds_read_b128 v[38:41], v44 offset:8416
	ds_read_b128 v[54:57], v44 offset:8432
	v_pk_fma_f32 v[42:43], v[42:43], v[58:59], v[62:63] op_sel:[0,1,0]
	ds_read2_b64 v[62:65], v48 offset0:128 offset1:160
	v_xor_b32_e32 v50, 0x80000000, v53
	v_pk_fma_f32 v[42:43], v[52:53], v[60:61], v[42:43] op_sel_hi:[1,0,1]
	v_mov_b32_e32 v51, v52
	v_mov_b32_e32 v52, v61
	v_pk_fma_f32 v[42:43], v[50:51], v[52:53], v[42:43] op_sel_hi:[1,0,1]
	s_waitcnt lgkmcnt(0)
	v_xor_b32_e32 v50, 0x80000000, v63
	v_pk_fma_f32 v[42:43], v[62:63], v[38:39], v[42:43] op_sel_hi:[1,0,1]
	v_mov_b32_e32 v51, v62
	v_pk_fma_f32 v[38:39], v[50:51], v[38:39], v[42:43] op_sel:[0,1,0]
	ds_read2_b64 v[50:53], v48 offset0:192 offset1:224
	v_xor_b32_e32 v42, 0x80000000, v65
	v_pk_fma_f32 v[38:39], v[64:65], v[40:41], v[38:39] op_sel_hi:[1,0,1]
	v_mov_b32_e32 v43, v64
	v_mov_b32_e32 v40, v41
	v_pk_fma_f32 v[38:39], v[42:43], v[40:41], v[38:39] op_sel_hi:[1,0,1]
	s_waitcnt lgkmcnt(0)
	v_xor_b32_e32 v40, 0x80000000, v51
	v_pk_fma_f32 v[38:39], v[50:51], v[54:55], v[38:39] op_sel_hi:[1,0,1]
	v_mov_b32_e32 v41, v50
	v_pk_fma_f32 v[38:39], v[40:41], v[54:55], v[38:39] op_sel:[0,1,0]
	v_xor_b32_e32 v40, 0x80000000, v53
	v_pk_fma_f32 v[38:39], v[52:53], v[56:57], v[38:39] op_sel_hi:[1,0,1]
	v_mov_b32_e32 v41, v52
	v_mov_b32_e32 v42, v57
	v_pk_fma_f32 v[38:39], v[40:41], v[42:43], v[38:39] op_sel_hi:[1,0,1]
	s_addc_u32 s51, s51, 0
	v_mov_b64_e32 v[40:41], s[28:29]
	v_cmp_ge_i64_e32 vcc, s[50:51], v[40:41]
	v_lshl_add_u64 v[34:35], v[34:35], 0, s[44:45]
	v_lshl_add_u64 v[36:37], v[36:37], 0, s[44:45]
	s_barrier
	s_cbranch_vccnz .LBB8_10
.LBB8_13:                               ;   Parent Loop BB8_8 Depth=1
                                        ;     Parent Loop BB8_11 Depth=2
                                        ; =>    This Inner Loop Header: Depth=3
	s_mov_b64 s[52:53], -1
	s_and_b64 vcc, exec, s[30:31]
	s_mov_b64 s[54:55], 0
                                        ; implicit-def: $vgpr40_vgpr41
	s_cbranch_vccnz .LBB8_23
; %bb.14:                               ;   in Loop: Header=BB8_13 Depth=3
	s_and_b64 vcc, exec, s[52:53]
	s_cbranch_vccnz .LBB8_28
.LBB8_15:                               ;   in Loop: Header=BB8_13 Depth=3
	v_mov_b32_e32 v42, 0
	v_mov_b32_e32 v43, 0
	s_and_saveexec_b64 s[52:53], s[54:55]
	s_cbranch_execnz .LBB8_31
.LBB8_16:                               ;   in Loop: Header=BB8_13 Depth=3
	s_or_b64 exec, exec, s[52:53]
	s_and_b64 vcc, exec, s[26:27]
	ds_write_b64 v15, v[42:43]
	s_cbranch_vccz .LBB8_32
.LBB8_17:                               ;   in Loop: Header=BB8_13 Depth=3
	s_mov_b64 s[54:55], 0
	s_mov_b64 s[52:53], 0
                                        ; implicit-def: $vgpr40_vgpr41
	s_and_saveexec_b64 s[56:57], s[4:5]
	s_cbranch_execz .LBB8_21
; %bb.18:                               ;   in Loop: Header=BB8_13 Depth=3
	v_lshl_add_u64 v[42:43], s[50:51], 0, v[6:7]
	v_cmp_gt_i64_e32 vcc, s[28:29], v[42:43]
                                        ; implicit-def: $vgpr40_vgpr41
	s_and_saveexec_b64 s[58:59], vcc
	s_xor_b64 s[58:59], exec, s[58:59]
; %bb.19:                               ;   in Loop: Header=BB8_13 Depth=3
	v_mul_lo_u32 v9, v43, s28
	v_mul_lo_u32 v43, v42, s29
	v_mad_u64_u32 v[40:41], s[60:61], v42, s28, 0
	v_add3_u32 v41, v41, v43, v9
	s_mov_b64 s[52:53], exec
	v_lshl_add_u64 v[40:41], v[40:41], 3, v[32:33]
; %bb.20:                               ;   in Loop: Header=BB8_13 Depth=3
	s_or_b64 exec, exec, s[58:59]
	s_and_b64 s[52:53], s[52:53], exec
.LBB8_21:                               ;   in Loop: Header=BB8_13 Depth=3
	s_or_b64 exec, exec, s[56:57]
	s_and_b64 vcc, exec, s[54:55]
	s_cbranch_vccnz .LBB8_33
.LBB8_22:                               ;   in Loop: Header=BB8_13 Depth=3
	v_mov_b32_e32 v42, 0
	v_mov_b32_e32 v43, 0
	s_and_saveexec_b64 s[54:55], s[52:53]
	s_cbranch_execz .LBB8_12
	s_branch .LBB8_36
.LBB8_23:                               ;   in Loop: Header=BB8_13 Depth=3
	s_mov_b64 s[52:53], 0
                                        ; implicit-def: $vgpr40_vgpr41
	s_and_saveexec_b64 s[56:57], s[0:1]
	s_cbranch_execz .LBB8_27
; %bb.24:                               ;   in Loop: Header=BB8_13 Depth=3
	v_lshl_add_u64 v[42:43], s[50:51], 0, v[0:1]
	v_cmp_gt_i64_e32 vcc, s[28:29], v[42:43]
                                        ; implicit-def: $vgpr40_vgpr41
	s_and_saveexec_b64 s[58:59], vcc
	s_xor_b64 s[58:59], exec, s[58:59]
; %bb.25:                               ;   in Loop: Header=BB8_13 Depth=3
	v_lshl_add_u64 v[40:41], v[42:43], 0, s[48:49]
	v_mul_lo_u32 v9, v41, s18
	v_mul_lo_u32 v42, v40, s19
	v_mad_u64_u32 v[40:41], s[60:61], v40, s18, 0
	v_add3_u32 v41, v41, v42, v9
	s_mov_b64 s[54:55], exec
	v_lshl_add_u64 v[40:41], v[40:41], 3, v[12:13]
; %bb.26:                               ;   in Loop: Header=BB8_13 Depth=3
	s_or_b64 exec, exec, s[58:59]
	s_and_b64 s[54:55], s[54:55], exec
.LBB8_27:                               ;   in Loop: Header=BB8_13 Depth=3
	s_or_b64 exec, exec, s[56:57]
	s_and_b64 vcc, exec, s[52:53]
	s_cbranch_vccz .LBB8_15
.LBB8_28:                               ;   in Loop: Header=BB8_13 Depth=3
	s_and_saveexec_b64 s[52:53], s[0:1]
; %bb.29:                               ;   in Loop: Header=BB8_13 Depth=3
	v_lshl_add_u64 v[40:41], v[0:1], 0, s[50:51]
	v_cmp_gt_i64_e32 vcc, s[28:29], v[40:41]
	s_andn2_b64 s[54:55], s[54:55], exec
	s_and_b64 s[56:57], vcc, exec
	s_or_b64 s[54:55], s[54:55], s[56:57]
; %bb.30:                               ;   in Loop: Header=BB8_13 Depth=3
	s_or_b64 exec, exec, s[52:53]
	v_mov_b64_e32 v[40:41], v[34:35]
	v_mov_b32_e32 v42, 0
	v_mov_b32_e32 v43, 0
	s_and_saveexec_b64 s[52:53], s[54:55]
	s_cbranch_execz .LBB8_16
.LBB8_31:                               ;   in Loop: Header=BB8_13 Depth=3
	global_load_dwordx2 v[42:43], v[40:41], off
	s_or_b64 exec, exec, s[52:53]
	s_and_b64 vcc, exec, s[26:27]
	s_waitcnt vmcnt(0)
	ds_write_b64 v15, v[42:43]
	s_cbranch_vccnz .LBB8_17
.LBB8_32:                               ;   in Loop: Header=BB8_13 Depth=3
	s_mov_b64 s[52:53], 0
                                        ; implicit-def: $vgpr40_vgpr41
	s_cbranch_execz .LBB8_22
.LBB8_33:                               ;   in Loop: Header=BB8_13 Depth=3
	s_and_saveexec_b64 s[54:55], s[4:5]
; %bb.34:                               ;   in Loop: Header=BB8_13 Depth=3
	v_lshl_add_u64 v[40:41], v[6:7], 0, s[50:51]
	v_cmp_gt_i64_e32 vcc, s[28:29], v[40:41]
	s_andn2_b64 s[52:53], s[52:53], exec
	s_and_b64 s[56:57], vcc, exec
	s_or_b64 s[52:53], s[52:53], s[56:57]
; %bb.35:                               ;   in Loop: Header=BB8_13 Depth=3
	s_or_b64 exec, exec, s[54:55]
	v_mov_b64_e32 v[40:41], v[36:37]
	v_mov_b32_e32 v42, 0
	v_mov_b32_e32 v43, 0
	s_and_saveexec_b64 s[54:55], s[52:53]
	s_cbranch_execz .LBB8_12
.LBB8_36:                               ;   in Loop: Header=BB8_13 Depth=3
	global_load_dwordx2 v[42:43], v[40:41], off
	s_branch .LBB8_12
.LBB8_37:                               ;   in Loop: Header=BB8_8 Depth=1
	v_cmp_gt_i64_e32 vcc, s[28:29], v[26:27]
	s_and_b64 s[46:47], s[6:7], vcc
	s_and_saveexec_b64 s[4:5], s[46:47]
	s_cbranch_execz .LBB8_7
; %bb.38:                               ;   in Loop: Header=BB8_8 Depth=1
	v_lshl_add_u64 v[26:27], v[26:27], 0, s[34:35]
	s_and_saveexec_b64 s[46:47], s[38:39]
	s_xor_b64 s[46:47], exec, s[46:47]
	s_cbranch_execz .LBB8_43
; %bb.39:                               ;   in Loop: Header=BB8_8 Depth=1
	s_mov_b64 s[48:49], -1
	s_and_b64 vcc, exec, s[20:21]
	s_cbranch_vccz .LBB8_41
; %bb.40:                               ;   in Loop: Header=BB8_8 Depth=1
	v_mul_lo_u32 v9, v27, s14
	v_mul_lo_u32 v30, v26, s15
	v_mad_u64_u32 v[28:29], s[48:49], v26, s14, 0
	v_add3_u32 v29, v29, v30, v9
	v_lshl_add_u64 v[28:29], v[28:29], 3, v[10:11]
	global_load_dwordx2 v[30:31], v[28:29], off
	v_pk_mul_f32 v[32:33], v[38:39], v[16:17] op_sel:[1,0]
	s_mov_b64 s[48:49], 0
	v_pk_fma_f32 v[32:33], v[2:3], v[38:39], v[32:33] op_sel_hi:[1,0,1]
	s_waitcnt vmcnt(0)
	v_pk_fma_f32 v[32:33], v[4:5], v[30:31], v[32:33] op_sel_hi:[1,0,1]
	s_nop 0
	v_pk_fma_f32 v[30:31], v[18:19], v[30:31], v[32:33] op_sel:[0,1,0]
	global_store_dwordx2 v[28:29], v[30:31], off
.LBB8_41:                               ;   in Loop: Header=BB8_8 Depth=1
	s_andn2_b64 vcc, exec, s[48:49]
	s_cbranch_vccnz .LBB8_43
; %bb.42:                               ;   in Loop: Header=BB8_8 Depth=1
	v_lshl_add_u64 v[26:27], v[26:27], 3, v[20:21]
	global_load_dwordx2 v[28:29], v[26:27], off
	v_pk_mul_f32 v[30:31], v[38:39], v[16:17] op_sel:[1,0]
	s_nop 0
	v_pk_fma_f32 v[30:31], v[2:3], v[38:39], v[30:31] op_sel_hi:[1,0,1]
                                        ; implicit-def: $vgpr38_vgpr39
	s_waitcnt vmcnt(0)
	v_pk_fma_f32 v[30:31], v[4:5], v[28:29], v[30:31] op_sel_hi:[1,0,1]
	s_nop 0
	v_pk_fma_f32 v[28:29], v[18:19], v[28:29], v[30:31] op_sel:[0,1,0]
	global_store_dwordx2 v[26:27], v[28:29], off
                                        ; implicit-def: $vgpr26_vgpr27
.LBB8_43:                               ;   in Loop: Header=BB8_8 Depth=1
	s_andn2_saveexec_b64 s[46:47], s[46:47]
	s_cbranch_execz .LBB8_7
; %bb.44:                               ;   in Loop: Header=BB8_8 Depth=1
	v_pk_mul_f32 v[28:29], v[38:39], v[16:17] op_sel:[1,0]
	s_mov_b64 s[46:47], -1
	v_pk_fma_f32 v[28:29], v[2:3], v[38:39], v[28:29] op_sel_hi:[1,0,1]
	s_and_b64 vcc, exec, s[20:21]
	s_cbranch_vccz .LBB8_46
; %bb.45:                               ;   in Loop: Header=BB8_8 Depth=1
	v_mul_lo_u32 v9, v27, s14
	v_mul_lo_u32 v32, v26, s15
	v_mad_u64_u32 v[30:31], s[46:47], v26, s14, 0
	v_add3_u32 v31, v31, v32, v9
	v_lshl_add_u64 v[30:31], v[30:31], 3, v[10:11]
	global_store_dwordx2 v[30:31], v[28:29], off
	s_mov_b64 s[46:47], 0
.LBB8_46:                               ;   in Loop: Header=BB8_8 Depth=1
	s_andn2_b64 vcc, exec, s[46:47]
	s_cbranch_vccnz .LBB8_7
; %bb.47:                               ;   in Loop: Header=BB8_8 Depth=1
	v_lshl_add_u64 v[26:27], v[26:27], 3, v[20:21]
	global_store_dwordx2 v[26:27], v[28:29], off
	s_branch .LBB8_7
.LBB8_48:
	s_endpgm
	.section	.rodata,"a",@progbits
	.p2align	6, 0x0
	.amdhsa_kernel _ZN9rocsparseL29bsrmm_general_blockdim_kernelILj32ELj32Ell21rocsparse_complex_numIfES2_S2_S2_EEvb20rocsparse_direction_T2_S4_llNS_24const_host_device_scalarIT6_EEPKT1_PKS4_PKT3_S4_PKT4_llS7_PT5_ll16rocsparse_order_21rocsparse_index_base_b
		.amdhsa_group_segment_fixed_size 16384
		.amdhsa_private_segment_fixed_size 0
		.amdhsa_kernarg_size 148
		.amdhsa_user_sgpr_count 2
		.amdhsa_user_sgpr_dispatch_ptr 0
		.amdhsa_user_sgpr_queue_ptr 0
		.amdhsa_user_sgpr_kernarg_segment_ptr 1
		.amdhsa_user_sgpr_dispatch_id 0
		.amdhsa_user_sgpr_kernarg_preload_length 0
		.amdhsa_user_sgpr_kernarg_preload_offset 0
		.amdhsa_user_sgpr_private_segment_size 0
		.amdhsa_uses_dynamic_stack 0
		.amdhsa_enable_private_segment 0
		.amdhsa_system_sgpr_workgroup_id_x 1
		.amdhsa_system_sgpr_workgroup_id_y 1
		.amdhsa_system_sgpr_workgroup_id_z 0
		.amdhsa_system_sgpr_workgroup_info 0
		.amdhsa_system_vgpr_workitem_id 1
		.amdhsa_next_free_vgpr 70
		.amdhsa_next_free_sgpr 62
		.amdhsa_accum_offset 72
		.amdhsa_reserve_vcc 1
		.amdhsa_float_round_mode_32 0
		.amdhsa_float_round_mode_16_64 0
		.amdhsa_float_denorm_mode_32 3
		.amdhsa_float_denorm_mode_16_64 3
		.amdhsa_dx10_clamp 1
		.amdhsa_ieee_mode 1
		.amdhsa_fp16_overflow 0
		.amdhsa_tg_split 0
		.amdhsa_exception_fp_ieee_invalid_op 0
		.amdhsa_exception_fp_denorm_src 0
		.amdhsa_exception_fp_ieee_div_zero 0
		.amdhsa_exception_fp_ieee_overflow 0
		.amdhsa_exception_fp_ieee_underflow 0
		.amdhsa_exception_fp_ieee_inexact 0
		.amdhsa_exception_int_div_zero 0
	.end_amdhsa_kernel
	.section	.text._ZN9rocsparseL29bsrmm_general_blockdim_kernelILj32ELj32Ell21rocsparse_complex_numIfES2_S2_S2_EEvb20rocsparse_direction_T2_S4_llNS_24const_host_device_scalarIT6_EEPKT1_PKS4_PKT3_S4_PKT4_llS7_PT5_ll16rocsparse_order_21rocsparse_index_base_b,"axG",@progbits,_ZN9rocsparseL29bsrmm_general_blockdim_kernelILj32ELj32Ell21rocsparse_complex_numIfES2_S2_S2_EEvb20rocsparse_direction_T2_S4_llNS_24const_host_device_scalarIT6_EEPKT1_PKS4_PKT3_S4_PKT4_llS7_PT5_ll16rocsparse_order_21rocsparse_index_base_b,comdat
.Lfunc_end8:
	.size	_ZN9rocsparseL29bsrmm_general_blockdim_kernelILj32ELj32Ell21rocsparse_complex_numIfES2_S2_S2_EEvb20rocsparse_direction_T2_S4_llNS_24const_host_device_scalarIT6_EEPKT1_PKS4_PKT3_S4_PKT4_llS7_PT5_ll16rocsparse_order_21rocsparse_index_base_b, .Lfunc_end8-_ZN9rocsparseL29bsrmm_general_blockdim_kernelILj32ELj32Ell21rocsparse_complex_numIfES2_S2_S2_EEvb20rocsparse_direction_T2_S4_llNS_24const_host_device_scalarIT6_EEPKT1_PKS4_PKT3_S4_PKT4_llS7_PT5_ll16rocsparse_order_21rocsparse_index_base_b
                                        ; -- End function
	.set _ZN9rocsparseL29bsrmm_general_blockdim_kernelILj32ELj32Ell21rocsparse_complex_numIfES2_S2_S2_EEvb20rocsparse_direction_T2_S4_llNS_24const_host_device_scalarIT6_EEPKT1_PKS4_PKT3_S4_PKT4_llS7_PT5_ll16rocsparse_order_21rocsparse_index_base_b.num_vgpr, 70
	.set _ZN9rocsparseL29bsrmm_general_blockdim_kernelILj32ELj32Ell21rocsparse_complex_numIfES2_S2_S2_EEvb20rocsparse_direction_T2_S4_llNS_24const_host_device_scalarIT6_EEPKT1_PKS4_PKT3_S4_PKT4_llS7_PT5_ll16rocsparse_order_21rocsparse_index_base_b.num_agpr, 0
	.set _ZN9rocsparseL29bsrmm_general_blockdim_kernelILj32ELj32Ell21rocsparse_complex_numIfES2_S2_S2_EEvb20rocsparse_direction_T2_S4_llNS_24const_host_device_scalarIT6_EEPKT1_PKS4_PKT3_S4_PKT4_llS7_PT5_ll16rocsparse_order_21rocsparse_index_base_b.numbered_sgpr, 62
	.set _ZN9rocsparseL29bsrmm_general_blockdim_kernelILj32ELj32Ell21rocsparse_complex_numIfES2_S2_S2_EEvb20rocsparse_direction_T2_S4_llNS_24const_host_device_scalarIT6_EEPKT1_PKS4_PKT3_S4_PKT4_llS7_PT5_ll16rocsparse_order_21rocsparse_index_base_b.num_named_barrier, 0
	.set _ZN9rocsparseL29bsrmm_general_blockdim_kernelILj32ELj32Ell21rocsparse_complex_numIfES2_S2_S2_EEvb20rocsparse_direction_T2_S4_llNS_24const_host_device_scalarIT6_EEPKT1_PKS4_PKT3_S4_PKT4_llS7_PT5_ll16rocsparse_order_21rocsparse_index_base_b.private_seg_size, 0
	.set _ZN9rocsparseL29bsrmm_general_blockdim_kernelILj32ELj32Ell21rocsparse_complex_numIfES2_S2_S2_EEvb20rocsparse_direction_T2_S4_llNS_24const_host_device_scalarIT6_EEPKT1_PKS4_PKT3_S4_PKT4_llS7_PT5_ll16rocsparse_order_21rocsparse_index_base_b.uses_vcc, 1
	.set _ZN9rocsparseL29bsrmm_general_blockdim_kernelILj32ELj32Ell21rocsparse_complex_numIfES2_S2_S2_EEvb20rocsparse_direction_T2_S4_llNS_24const_host_device_scalarIT6_EEPKT1_PKS4_PKT3_S4_PKT4_llS7_PT5_ll16rocsparse_order_21rocsparse_index_base_b.uses_flat_scratch, 0
	.set _ZN9rocsparseL29bsrmm_general_blockdim_kernelILj32ELj32Ell21rocsparse_complex_numIfES2_S2_S2_EEvb20rocsparse_direction_T2_S4_llNS_24const_host_device_scalarIT6_EEPKT1_PKS4_PKT3_S4_PKT4_llS7_PT5_ll16rocsparse_order_21rocsparse_index_base_b.has_dyn_sized_stack, 0
	.set _ZN9rocsparseL29bsrmm_general_blockdim_kernelILj32ELj32Ell21rocsparse_complex_numIfES2_S2_S2_EEvb20rocsparse_direction_T2_S4_llNS_24const_host_device_scalarIT6_EEPKT1_PKS4_PKT3_S4_PKT4_llS7_PT5_ll16rocsparse_order_21rocsparse_index_base_b.has_recursion, 0
	.set _ZN9rocsparseL29bsrmm_general_blockdim_kernelILj32ELj32Ell21rocsparse_complex_numIfES2_S2_S2_EEvb20rocsparse_direction_T2_S4_llNS_24const_host_device_scalarIT6_EEPKT1_PKS4_PKT3_S4_PKT4_llS7_PT5_ll16rocsparse_order_21rocsparse_index_base_b.has_indirect_call, 0
	.section	.AMDGPU.csdata,"",@progbits
; Kernel info:
; codeLenInByte = 3208
; TotalNumSgprs: 68
; NumVgprs: 70
; NumAgprs: 0
; TotalNumVgprs: 70
; ScratchSize: 0
; MemoryBound: 0
; FloatMode: 240
; IeeeMode: 1
; LDSByteSize: 16384 bytes/workgroup (compile time only)
; SGPRBlocks: 8
; VGPRBlocks: 8
; NumSGPRsForWavesPerEU: 68
; NumVGPRsForWavesPerEU: 70
; AccumOffset: 72
; Occupancy: 7
; WaveLimiterHint : 1
; COMPUTE_PGM_RSRC2:SCRATCH_EN: 0
; COMPUTE_PGM_RSRC2:USER_SGPR: 2
; COMPUTE_PGM_RSRC2:TRAP_HANDLER: 0
; COMPUTE_PGM_RSRC2:TGID_X_EN: 1
; COMPUTE_PGM_RSRC2:TGID_Y_EN: 1
; COMPUTE_PGM_RSRC2:TGID_Z_EN: 0
; COMPUTE_PGM_RSRC2:TIDIG_COMP_CNT: 1
; COMPUTE_PGM_RSRC3_GFX90A:ACCUM_OFFSET: 17
; COMPUTE_PGM_RSRC3_GFX90A:TG_SPLIT: 0
	.section	.text._ZN9rocsparseL29bsrmm_general_blockdim_kernelILj32ELj32Eii21rocsparse_complex_numIdES2_S2_S2_EEvb20rocsparse_direction_T2_S4_llNS_24const_host_device_scalarIT6_EEPKT1_PKS4_PKT3_S4_PKT4_llS7_PT5_ll16rocsparse_order_21rocsparse_index_base_b,"axG",@progbits,_ZN9rocsparseL29bsrmm_general_blockdim_kernelILj32ELj32Eii21rocsparse_complex_numIdES2_S2_S2_EEvb20rocsparse_direction_T2_S4_llNS_24const_host_device_scalarIT6_EEPKT1_PKS4_PKT3_S4_PKT4_llS7_PT5_ll16rocsparse_order_21rocsparse_index_base_b,comdat
	.globl	_ZN9rocsparseL29bsrmm_general_blockdim_kernelILj32ELj32Eii21rocsparse_complex_numIdES2_S2_S2_EEvb20rocsparse_direction_T2_S4_llNS_24const_host_device_scalarIT6_EEPKT1_PKS4_PKT3_S4_PKT4_llS7_PT5_ll16rocsparse_order_21rocsparse_index_base_b ; -- Begin function _ZN9rocsparseL29bsrmm_general_blockdim_kernelILj32ELj32Eii21rocsparse_complex_numIdES2_S2_S2_EEvb20rocsparse_direction_T2_S4_llNS_24const_host_device_scalarIT6_EEPKT1_PKS4_PKT3_S4_PKT4_llS7_PT5_ll16rocsparse_order_21rocsparse_index_base_b
	.p2align	8
	.type	_ZN9rocsparseL29bsrmm_general_blockdim_kernelILj32ELj32Eii21rocsparse_complex_numIdES2_S2_S2_EEvb20rocsparse_direction_T2_S4_llNS_24const_host_device_scalarIT6_EEPKT1_PKS4_PKT3_S4_PKT4_llS7_PT5_ll16rocsparse_order_21rocsparse_index_base_b,@function
_ZN9rocsparseL29bsrmm_general_blockdim_kernelILj32ELj32Eii21rocsparse_complex_numIdES2_S2_S2_EEvb20rocsparse_direction_T2_S4_llNS_24const_host_device_scalarIT6_EEPKT1_PKS4_PKT3_S4_PKT4_llS7_PT5_ll16rocsparse_order_21rocsparse_index_base_b: ; @_ZN9rocsparseL29bsrmm_general_blockdim_kernelILj32ELj32Eii21rocsparse_complex_numIdES2_S2_S2_EEvb20rocsparse_direction_T2_S4_llNS_24const_host_device_scalarIT6_EEPKT1_PKS4_PKT3_S4_PKT4_llS7_PT5_ll16rocsparse_order_21rocsparse_index_base_b
; %bb.0:
	s_load_dwordx2 s[6:7], s[0:1], 0x20
	s_load_dwordx4 s[8:11], s[0:1], 0x90
	s_mov_b32 s4, s3
	s_add_u32 s3, s0, 32
	s_addc_u32 s5, s1, 0
	s_add_u32 s12, s0, 0x68
	s_addc_u32 s13, s1, 0
	s_waitcnt lgkmcnt(0)
	s_bitcmp1_b32 s10, 0
	s_load_dwordx2 s[10:11], s[0:1], 0x68
	s_cselect_b32 s5, s5, s7
	s_cselect_b32 s3, s3, s6
	v_mov_b32_e32 v2, s3
	v_mov_b32_e32 v3, s5
	flat_load_dwordx4 v[2:5], v[2:3]
	s_waitcnt lgkmcnt(0)
	s_cselect_b32 s3, s13, s11
	s_cselect_b32 s5, s12, s10
	v_mov_b32_e32 v6, s5
	v_mov_b32_e32 v7, s3
	flat_load_dwordx4 v[6:9], v[6:7]
	s_waitcnt vmcnt(0)
	v_cmp_eq_f64_e32 vcc, 0, v[2:3]
	v_cmp_eq_f64_e64 s[6:7], 0, v[4:5]
	s_and_b64 s[12:13], vcc, s[6:7]
	s_mov_b64 s[6:7], -1
	s_and_saveexec_b64 s[10:11], s[12:13]
	s_cbranch_execz .LBB9_2
; %bb.1:
	s_waitcnt lgkmcnt(0)
	v_cmp_neq_f64_e32 vcc, 1.0, v[6:7]
	v_cmp_neq_f64_e64 s[6:7], 0, v[8:9]
	s_or_b64 s[6:7], vcc, s[6:7]
	s_orn2_b64 s[6:7], s[6:7], exec
.LBB9_2:
	s_or_b64 exec, exec, s[10:11]
	s_and_saveexec_b64 s[10:11], s[6:7]
	s_cbranch_execz .LBB9_54
; %bb.3:
	s_load_dwordx4 s[24:27], s[0:1], 0x0
	s_load_dwordx2 s[6:7], s[0:1], 0x30
	s_mov_b32 s33, 0
	s_mov_b32 s38, 0
	s_waitcnt lgkmcnt(0)
	s_cmp_lt_i32 s2, s26
	s_cselect_b64 s[28:29], -1, 0
	s_cmp_ge_i32 s2, s26
	s_cbranch_scc0 .LBB9_6
; %bb.4:
	s_andn2_b64 vcc, exec, s[28:29]
	s_cbranch_vccz .LBB9_7
.LBB9_5:
	s_load_dword s39, s[0:1], 0x48
	s_waitcnt lgkmcnt(0)
	s_cmp_lt_i32 s39, 1
	s_cbranch_scc0 .LBB9_8
	s_branch .LBB9_54
.LBB9_6:
	s_ashr_i32 s3, s2, 31
	s_lshl_b64 s[10:11], s[2:3], 2
	s_add_u32 s10, s6, s10
	s_addc_u32 s11, s7, s11
	s_load_dword s3, s[10:11], 0x0
	s_waitcnt lgkmcnt(0)
	s_sub_i32 s38, s3, s9
	s_andn2_b64 vcc, exec, s[28:29]
	s_cbranch_vccnz .LBB9_5
.LBB9_7:
	s_ashr_i32 s3, s2, 31
	s_lshl_b64 s[10:11], s[2:3], 2
	s_add_u32 s6, s6, s10
	s_addc_u32 s7, s7, s11
	s_load_dword s3, s[6:7], 0x4
	s_waitcnt lgkmcnt(0)
	s_sub_i32 s33, s3, s9
	s_load_dword s39, s[0:1], 0x48
	s_waitcnt lgkmcnt(0)
	s_cmp_lt_i32 s39, 1
	s_cbranch_scc1 .LBB9_54
.LBB9_8:
	s_load_dwordx4 s[12:15], s[0:1], 0x78
	s_load_dwordx4 s[16:19], s[0:1], 0x38
	;; [unrolled: 1-line block ×3, first 2 shown]
	s_bitcmp1_b32 s24, 0
	v_and_b32_e32 v1, 0x3ff, v0
	v_bfe_u32 v0, v0, 10, 10
	s_cselect_b64 s[0:1], -1, 0
	s_xor_b64 s[6:7], s[0:1], -1
	v_lshl_add_u32 v10, s4, 5, v0
	s_mul_i32 s40, s39, s2
	s_cmp_lt_i32 s38, s33
	v_ashrrev_i32_e32 v11, 31, v10
	s_waitcnt lgkmcnt(0)
	v_mad_u64_u32 v[16:17], s[2:3], s22, v10, 0
	s_cselect_b64 s[4:5], -1, 0
	v_lshlrev_b64 v[12:13], 4, v[10:11]
	v_mul_lo_u32 v18, s22, v11
	v_mul_lo_u32 v19, s23, v10
	s_cmp_lg_u32 s25, 0
	v_cmp_neq_f64_e32 vcc, 0, v[6:7]
	v_cmp_neq_f64_e64 s[2:3], 0, v[8:9]
	v_cmp_gt_i32_e64 s[0:1], s27, v10
	v_lshl_add_u64 v[14:15], s[20:21], 0, v[12:13]
	v_add3_u32 v17, v17, v18, v19
	s_cselect_b64 s[10:11], -1, 0
	s_or_b64 s[24:25], vcc, s[2:3]
	v_lshl_add_u64 v[18:19], s[12:13], 0, v[12:13]
	v_mul_lo_u32 v12, s14, v11
	v_mul_lo_u32 v13, s15, v10
	v_mad_u64_u32 v[10:11], s[2:3], s14, v10, 0
	v_add3_u32 v11, v11, v12, v13
	s_mul_i32 s2, s38, s39
	v_lshlrev_b32_e32 v32, 4, v1
	v_lshl_add_u64 v[16:17], v[16:17], 4, s[20:21]
	s_and_b64 s[20:21], s[28:29], s[0:1]
	v_lshl_add_u64 v[20:21], v[10:11], 4, s[12:13]
	v_add_u32_e32 v10, s2, v1
	v_or_b32_e32 v24, 0x4000, v32
	v_lshlrev_b32_e32 v33, 9, v0
	s_cmp_lg_u32 s8, 1
	v_mad_u64_u32 v[22:23], s[2:3], s39, v10, v[0:1]
	v_cndmask_b32_e64 v10, 0, 1, s[4:5]
	s_mov_b32 s41, 0
	s_cselect_b64 s[26:27], -1, 0
	s_lshl_b32 s8, s39, 5
	s_mul_i32 s42, s39, s39
	v_cmp_ne_u32_e64 s[2:3], 1, v10
	v_add_u32_e32 v23, v24, v33
	v_add_u32_e32 v34, v32, v33
	s_branch .LBB9_10
.LBB9_9:                                ;   in Loop: Header=BB9_10 Depth=1
	s_or_b64 exec, exec, s[4:5]
	s_add_i32 s41, s41, 32
	s_cmp_lt_i32 s41, s39
	v_add_u32_e32 v22, s8, v22
	s_cbranch_scc0 .LBB9_54
.LBB9_10:                               ; =>This Loop Header: Depth=1
                                        ;     Child Loop BB9_13 Depth 2
                                        ;       Child Loop BB9_15 Depth 3
	v_add_u32_e32 v26, s41, v1
	v_mov_b64_e32 v[24:25], 0
	s_and_b64 vcc, exec, s[2:3]
	v_cmp_gt_i32_e64 s[4:5], s39, v26
	v_mov_b64_e32 v[28:29], 0
	s_cbranch_vccnz .LBB9_43
; %bb.11:                               ;   in Loop: Header=BB9_10 Depth=1
	v_mov_b64_e32 v[24:25], 0
	v_mov_b32_e32 v27, v22
	s_mov_b32 s12, s38
	v_mov_b64_e32 v[28:29], 0
	s_branch .LBB9_13
.LBB9_12:                               ;   in Loop: Header=BB9_13 Depth=2
	s_add_i32 s12, s12, 1
	s_cmp_ge_i32 s12, s33
	v_add_u32_e32 v27, s42, v27
	s_cbranch_scc1 .LBB9_43
.LBB9_13:                               ;   Parent Loop BB9_10 Depth=1
                                        ; =>  This Loop Header: Depth=2
                                        ;       Child Loop BB9_15 Depth 3
	s_ashr_i32 s13, s12, 31
	s_lshl_b64 s[28:29], s[12:13], 2
	s_add_u32 s28, s16, s28
	s_addc_u32 s29, s17, s29
	s_load_dword s28, s[28:29], 0x0
	s_mul_i32 s13, s12, s39
	s_mov_b32 s43, 0
	s_waitcnt lgkmcnt(0)
	s_sub_i32 s28, s28, s9
	s_mul_i32 s28, s28, s39
	v_add_u32_e32 v35, s28, v1
	s_branch .LBB9_15
.LBB9_14:                               ;   in Loop: Header=BB9_15 Depth=3
	s_or_b64 exec, exec, s[30:31]
	s_waitcnt vmcnt(0)
	ds_write_b128 v34, v[10:13]
	s_waitcnt lgkmcnt(0)
	s_barrier
	ds_read_b128 v[10:13], v32
	ds_read_b128 v[36:39], v33 offset:16384
	ds_read_b128 v[40:43], v33 offset:16400
	;; [unrolled: 1-line block ×5, first 2 shown]
	s_waitcnt lgkmcnt(4)
	v_fmac_f64_e32 v[28:29], v[10:11], v[36:37]
	v_fmac_f64_e32 v[24:25], v[12:13], v[36:37]
	v_fma_f64 v[28:29], -v[12:13], v[38:39], v[28:29]
	v_fmac_f64_e32 v[24:25], v[10:11], v[38:39]
	ds_read_b128 v[10:13], v32 offset:1024
	s_waitcnt lgkmcnt(1)
	v_fmac_f64_e32 v[28:29], v[52:53], v[40:41]
	v_fma_f64 v[36:37], -v[54:55], v[42:43], v[28:29]
	ds_read_b128 v[28:31], v32 offset:1536
	v_fmac_f64_e32 v[24:25], v[54:55], v[40:41]
	s_waitcnt lgkmcnt(1)
	v_fmac_f64_e32 v[36:37], v[10:11], v[44:45]
	v_fmac_f64_e32 v[24:25], v[52:53], v[42:43]
	v_fma_f64 v[36:37], -v[12:13], v[46:47], v[36:37]
	v_fmac_f64_e32 v[24:25], v[12:13], v[44:45]
	s_waitcnt lgkmcnt(0)
	v_fmac_f64_e32 v[36:37], v[28:29], v[48:49]
	v_fmac_f64_e32 v[24:25], v[10:11], v[46:47]
	v_fma_f64 v[44:45], -v[30:31], v[50:51], v[36:37]
	ds_read_b128 v[10:13], v32 offset:2048
	ds_read_b128 v[36:39], v33 offset:16448
	v_fmac_f64_e32 v[24:25], v[30:31], v[48:49]
	v_fmac_f64_e32 v[24:25], v[28:29], v[50:51]
	ds_read_b128 v[28:31], v32 offset:2560
	ds_read_b128 v[40:43], v33 offset:16464
	s_add_i32 s43, s43, 32
	s_waitcnt lgkmcnt(2)
	v_fmac_f64_e32 v[44:45], v[10:11], v[36:37]
	v_fmac_f64_e32 v[24:25], v[12:13], v[36:37]
	v_fma_f64 v[44:45], -v[12:13], v[38:39], v[44:45]
	v_fmac_f64_e32 v[24:25], v[10:11], v[38:39]
	ds_read_b128 v[10:13], v32 offset:3072
	ds_read_b128 v[36:39], v33 offset:16480
	s_waitcnt lgkmcnt(2)
	v_fmac_f64_e32 v[44:45], v[28:29], v[40:41]
	v_fmac_f64_e32 v[24:25], v[30:31], v[40:41]
	v_fma_f64 v[44:45], -v[30:31], v[42:43], v[44:45]
	v_fmac_f64_e32 v[24:25], v[28:29], v[42:43]
	ds_read_b128 v[28:31], v32 offset:3584
	ds_read_b128 v[40:43], v33 offset:16496
	;; [unrolled: 7-line block ×26, first 2 shown]
	s_waitcnt lgkmcnt(2)
	v_fmac_f64_e32 v[48:49], v[10:11], v[36:37]
	v_fmac_f64_e32 v[24:25], v[12:13], v[36:37]
	v_fma_f64 v[28:29], -v[12:13], v[38:39], v[48:49]
	v_fmac_f64_e32 v[24:25], v[10:11], v[38:39]
	s_waitcnt lgkmcnt(0)
	v_fmac_f64_e32 v[28:29], v[40:41], v[44:45]
	v_fmac_f64_e32 v[24:25], v[42:43], v[44:45]
	v_fma_f64 v[28:29], -v[42:43], v[46:47], v[28:29]
	v_fmac_f64_e32 v[24:25], v[40:41], v[46:47]
	s_cmp_ge_i32 s43, s39
	s_barrier
	s_cbranch_scc1 .LBB9_12
.LBB9_15:                               ;   Parent Loop BB9_10 Depth=1
                                        ;     Parent Loop BB9_13 Depth=2
                                        ; =>    This Inner Loop Header: Depth=3
	s_and_b64 vcc, exec, s[6:7]
	s_cbranch_vccz .LBB9_21
; %bb.16:                               ;   in Loop: Header=BB9_15 Depth=3
	s_mov_b64 s[30:31], 0
	s_mov_b64 s[28:29], 0
                                        ; implicit-def: $vgpr30_vgpr31
	s_and_saveexec_b64 s[34:35], s[0:1]
	s_cbranch_execz .LBB9_20
; %bb.17:                               ;   in Loop: Header=BB9_15 Depth=3
	v_add_u32_e32 v10, s43, v1
	v_cmp_gt_i32_e32 vcc, s39, v10
                                        ; implicit-def: $vgpr30_vgpr31
	s_and_saveexec_b64 s[36:37], vcc
	s_xor_b64 s[36:37], exec, s[36:37]
; %bb.18:                               ;   in Loop: Header=BB9_15 Depth=3
	v_add_u32_e32 v10, s43, v35
	v_ashrrev_i32_e32 v11, 31, v10
	v_mul_lo_u32 v12, s22, v11
	v_mul_lo_u32 v13, s23, v10
	v_mad_u64_u32 v[10:11], s[44:45], s22, v10, 0
	v_add3_u32 v11, v11, v12, v13
	s_mov_b64 s[28:29], exec
	v_lshl_add_u64 v[30:31], v[10:11], 4, v[14:15]
; %bb.19:                               ;   in Loop: Header=BB9_15 Depth=3
	s_or_b64 exec, exec, s[36:37]
	s_and_b64 s[28:29], s[28:29], exec
.LBB9_20:                               ;   in Loop: Header=BB9_15 Depth=3
	s_or_b64 exec, exec, s[34:35]
	s_and_b64 vcc, exec, s[30:31]
	s_cbranch_vccnz .LBB9_22
	s_branch .LBB9_27
.LBB9_21:                               ;   in Loop: Header=BB9_15 Depth=3
	s_mov_b64 s[28:29], 0
                                        ; implicit-def: $vgpr30_vgpr31
	s_cbranch_execz .LBB9_27
.LBB9_22:                               ;   in Loop: Header=BB9_15 Depth=3
                                        ; implicit-def: $vgpr30_vgpr31
	s_and_saveexec_b64 s[30:31], s[0:1]
	s_cbranch_execz .LBB9_26
; %bb.23:                               ;   in Loop: Header=BB9_15 Depth=3
	v_add_u32_e32 v10, s43, v1
	v_cmp_gt_i32_e32 vcc, s39, v10
	s_mov_b64 s[36:37], s[28:29]
                                        ; implicit-def: $vgpr30_vgpr31
	s_and_saveexec_b64 s[34:35], vcc
; %bb.24:                               ;   in Loop: Header=BB9_15 Depth=3
	v_add_u32_e32 v10, s43, v35
	v_ashrrev_i32_e32 v11, 31, v10
	v_lshl_add_u64 v[30:31], v[10:11], 4, v[16:17]
	s_or_b64 s[36:37], s[28:29], exec
; %bb.25:                               ;   in Loop: Header=BB9_15 Depth=3
	s_or_b64 exec, exec, s[34:35]
	s_andn2_b64 s[28:29], s[28:29], exec
	s_and_b64 s[34:35], s[36:37], exec
	s_or_b64 s[28:29], s[28:29], s[34:35]
.LBB9_26:                               ;   in Loop: Header=BB9_15 Depth=3
	s_or_b64 exec, exec, s[30:31]
.LBB9_27:                               ;   in Loop: Header=BB9_15 Depth=3
	v_mov_b64_e32 v[10:11], 0
	v_mov_b64_e32 v[12:13], 0
	s_and_saveexec_b64 s[30:31], s[28:29]
	s_cbranch_execnz .LBB9_35
; %bb.28:                               ;   in Loop: Header=BB9_15 Depth=3
	s_or_b64 exec, exec, s[30:31]
	s_and_b64 vcc, exec, s[10:11]
	ds_write_b128 v23, v[10:13]
	s_cbranch_vccz .LBB9_36
.LBB9_29:                               ;   in Loop: Header=BB9_15 Depth=3
	s_mov_b64 s[30:31], 0
	s_mov_b64 s[28:29], 0
                                        ; implicit-def: $vgpr30
	s_and_saveexec_b64 s[34:35], s[4:5]
	s_cbranch_execz .LBB9_33
; %bb.30:                               ;   in Loop: Header=BB9_15 Depth=3
	v_add_u32_e32 v10, s43, v0
	v_cmp_gt_i32_e32 vcc, s39, v10
                                        ; implicit-def: $vgpr30
	s_and_saveexec_b64 s[36:37], vcc
	s_xor_b64 s[36:37], exec, s[36:37]
; %bb.31:                               ;   in Loop: Header=BB9_15 Depth=3
	v_add_u32_e32 v10, s13, v10
	s_mov_b64 s[28:29], exec
	v_mad_u64_u32 v[30:31], s[44:45], v10, s39, v[26:27]
; %bb.32:                               ;   in Loop: Header=BB9_15 Depth=3
	s_or_b64 exec, exec, s[36:37]
	s_and_b64 s[28:29], s[28:29], exec
.LBB9_33:                               ;   in Loop: Header=BB9_15 Depth=3
	s_or_b64 exec, exec, s[34:35]
	s_and_b64 vcc, exec, s[30:31]
	s_cbranch_vccnz .LBB9_37
.LBB9_34:                               ;   in Loop: Header=BB9_15 Depth=3
	v_mov_b64_e32 v[10:11], 0
	v_mov_b64_e32 v[12:13], 0
	s_and_saveexec_b64 s[30:31], s[28:29]
	s_cbranch_execz .LBB9_14
	s_branch .LBB9_42
.LBB9_35:                               ;   in Loop: Header=BB9_15 Depth=3
	global_load_dwordx4 v[10:13], v[30:31], off
	s_or_b64 exec, exec, s[30:31]
	s_and_b64 vcc, exec, s[10:11]
	s_waitcnt vmcnt(0)
	ds_write_b128 v23, v[10:13]
	s_cbranch_vccnz .LBB9_29
.LBB9_36:                               ;   in Loop: Header=BB9_15 Depth=3
	s_mov_b64 s[28:29], 0
                                        ; implicit-def: $vgpr30
	s_cbranch_execz .LBB9_34
.LBB9_37:                               ;   in Loop: Header=BB9_15 Depth=3
                                        ; implicit-def: $vgpr30
	s_and_saveexec_b64 s[30:31], s[4:5]
	s_cbranch_execz .LBB9_41
; %bb.38:                               ;   in Loop: Header=BB9_15 Depth=3
	v_add_u32_e32 v10, s43, v0
	v_cmp_gt_i32_e32 vcc, s39, v10
	s_mov_b64 s[34:35], s[28:29]
                                        ; implicit-def: $vgpr30
	s_and_saveexec_b64 s[36:37], vcc
; %bb.39:                               ;   in Loop: Header=BB9_15 Depth=3
	v_add_u32_e32 v30, s43, v27
	s_or_b64 s[34:35], s[28:29], exec
; %bb.40:                               ;   in Loop: Header=BB9_15 Depth=3
	s_or_b64 exec, exec, s[36:37]
	s_andn2_b64 s[28:29], s[28:29], exec
	s_and_b64 s[34:35], s[34:35], exec
	s_or_b64 s[28:29], s[28:29], s[34:35]
.LBB9_41:                               ;   in Loop: Header=BB9_15 Depth=3
	s_or_b64 exec, exec, s[30:31]
	v_mov_b64_e32 v[10:11], 0
	v_mov_b64_e32 v[12:13], 0
	s_and_saveexec_b64 s[30:31], s[28:29]
	s_cbranch_execz .LBB9_14
.LBB9_42:                               ;   in Loop: Header=BB9_15 Depth=3
	v_ashrrev_i32_e32 v31, 31, v30
	v_lshl_add_u64 v[10:11], v[30:31], 4, s[18:19]
	global_load_dwordx4 v[10:13], v[10:11], off
	s_branch .LBB9_14
.LBB9_43:                               ;   in Loop: Header=BB9_10 Depth=1
	v_cmp_gt_i32_e32 vcc, s39, v26
	s_and_b64 s[12:13], s[20:21], vcc
	s_and_saveexec_b64 s[4:5], s[12:13]
	s_cbranch_execz .LBB9_9
; %bb.44:                               ;   in Loop: Header=BB9_10 Depth=1
	v_add_u32_e32 v26, s40, v26
	v_ashrrev_i32_e32 v27, 31, v26
	s_and_saveexec_b64 s[12:13], s[24:25]
	s_xor_b64 s[12:13], exec, s[12:13]
	s_cbranch_execz .LBB9_49
; %bb.45:                               ;   in Loop: Header=BB9_10 Depth=1
	s_mov_b64 s[28:29], -1
	s_and_b64 vcc, exec, s[26:27]
	s_cbranch_vccz .LBB9_47
; %bb.46:                               ;   in Loop: Header=BB9_10 Depth=1
	v_mul_lo_u32 v12, s15, v26
	v_mul_lo_u32 v13, s14, v27
	v_mad_u64_u32 v[10:11], s[28:29], s14, v26, 0
	v_add3_u32 v11, v11, v13, v12
	v_lshl_add_u64 v[30:31], v[10:11], 4, v[18:19]
	global_load_dwordx4 v[10:13], v[30:31], off
	v_mul_f64 v[36:37], v[24:25], -v[4:5]
	v_mul_f64 v[38:39], v[2:3], v[24:25]
	v_fmac_f64_e32 v[36:37], v[2:3], v[28:29]
	v_fmac_f64_e32 v[38:39], v[4:5], v[28:29]
	s_mov_b64 s[28:29], 0
	s_waitcnt vmcnt(0)
	v_fmac_f64_e32 v[36:37], v[6:7], v[10:11]
	v_fmac_f64_e32 v[38:39], v[8:9], v[10:11]
	v_fma_f64 v[36:37], -v[8:9], v[12:13], v[36:37]
	v_fmac_f64_e32 v[38:39], v[6:7], v[12:13]
	global_store_dwordx4 v[30:31], v[36:39], off
.LBB9_47:                               ;   in Loop: Header=BB9_10 Depth=1
	s_andn2_b64 vcc, exec, s[28:29]
	s_cbranch_vccnz .LBB9_49
; %bb.48:                               ;   in Loop: Header=BB9_10 Depth=1
	v_lshl_add_u64 v[30:31], v[26:27], 4, v[20:21]
	global_load_dwordx4 v[10:13], v[30:31], off
	v_mul_f64 v[36:37], v[24:25], -v[4:5]
	v_mul_f64 v[26:27], v[2:3], v[24:25]
	v_fmac_f64_e32 v[36:37], v[2:3], v[28:29]
	v_fmac_f64_e32 v[26:27], v[4:5], v[28:29]
                                        ; implicit-def: $vgpr28_vgpr29
	s_waitcnt vmcnt(0)
	v_fmac_f64_e32 v[36:37], v[6:7], v[10:11]
	v_fmac_f64_e32 v[26:27], v[8:9], v[10:11]
	v_fma_f64 v[24:25], -v[8:9], v[12:13], v[36:37]
	v_fmac_f64_e32 v[26:27], v[6:7], v[12:13]
	global_store_dwordx4 v[30:31], v[24:27], off
                                        ; implicit-def: $vgpr24_vgpr25
                                        ; implicit-def: $vgpr26
.LBB9_49:                               ;   in Loop: Header=BB9_10 Depth=1
	s_andn2_saveexec_b64 s[12:13], s[12:13]
	s_cbranch_execz .LBB9_9
; %bb.50:                               ;   in Loop: Header=BB9_10 Depth=1
	v_mul_f64 v[10:11], v[24:25], -v[4:5]
	v_mul_f64 v[12:13], v[2:3], v[24:25]
	v_fmac_f64_e32 v[10:11], v[2:3], v[28:29]
	v_fmac_f64_e32 v[12:13], v[4:5], v[28:29]
	s_mov_b64 s[12:13], -1
	s_and_b64 vcc, exec, s[26:27]
	s_cbranch_vccz .LBB9_52
; %bb.51:                               ;   in Loop: Header=BB9_10 Depth=1
	v_mul_lo_u32 v28, s15, v26
	v_mul_lo_u32 v29, s14, v27
	v_mad_u64_u32 v[24:25], s[12:13], s14, v26, 0
	v_add3_u32 v25, v25, v29, v28
	v_lshl_add_u64 v[24:25], v[24:25], 4, v[18:19]
	global_store_dwordx4 v[24:25], v[10:13], off
	s_mov_b64 s[12:13], 0
.LBB9_52:                               ;   in Loop: Header=BB9_10 Depth=1
	s_andn2_b64 vcc, exec, s[12:13]
	s_cbranch_vccnz .LBB9_9
; %bb.53:                               ;   in Loop: Header=BB9_10 Depth=1
	v_lshl_add_u64 v[24:25], v[26:27], 4, v[20:21]
	global_store_dwordx4 v[24:25], v[10:13], off
	s_branch .LBB9_9
.LBB9_54:
	s_endpgm
	.section	.rodata,"a",@progbits
	.p2align	6, 0x0
	.amdhsa_kernel _ZN9rocsparseL29bsrmm_general_blockdim_kernelILj32ELj32Eii21rocsparse_complex_numIdES2_S2_S2_EEvb20rocsparse_direction_T2_S4_llNS_24const_host_device_scalarIT6_EEPKT1_PKS4_PKT3_S4_PKT4_llS7_PT5_ll16rocsparse_order_21rocsparse_index_base_b
		.amdhsa_group_segment_fixed_size 32768
		.amdhsa_private_segment_fixed_size 0
		.amdhsa_kernarg_size 156
		.amdhsa_user_sgpr_count 2
		.amdhsa_user_sgpr_dispatch_ptr 0
		.amdhsa_user_sgpr_queue_ptr 0
		.amdhsa_user_sgpr_kernarg_segment_ptr 1
		.amdhsa_user_sgpr_dispatch_id 0
		.amdhsa_user_sgpr_kernarg_preload_length 0
		.amdhsa_user_sgpr_kernarg_preload_offset 0
		.amdhsa_user_sgpr_private_segment_size 0
		.amdhsa_uses_dynamic_stack 0
		.amdhsa_enable_private_segment 0
		.amdhsa_system_sgpr_workgroup_id_x 1
		.amdhsa_system_sgpr_workgroup_id_y 1
		.amdhsa_system_sgpr_workgroup_id_z 0
		.amdhsa_system_sgpr_workgroup_info 0
		.amdhsa_system_vgpr_workitem_id 1
		.amdhsa_next_free_vgpr 56
		.amdhsa_next_free_sgpr 46
		.amdhsa_accum_offset 56
		.amdhsa_reserve_vcc 1
		.amdhsa_float_round_mode_32 0
		.amdhsa_float_round_mode_16_64 0
		.amdhsa_float_denorm_mode_32 3
		.amdhsa_float_denorm_mode_16_64 3
		.amdhsa_dx10_clamp 1
		.amdhsa_ieee_mode 1
		.amdhsa_fp16_overflow 0
		.amdhsa_tg_split 0
		.amdhsa_exception_fp_ieee_invalid_op 0
		.amdhsa_exception_fp_denorm_src 0
		.amdhsa_exception_fp_ieee_div_zero 0
		.amdhsa_exception_fp_ieee_overflow 0
		.amdhsa_exception_fp_ieee_underflow 0
		.amdhsa_exception_fp_ieee_inexact 0
		.amdhsa_exception_int_div_zero 0
	.end_amdhsa_kernel
	.section	.text._ZN9rocsparseL29bsrmm_general_blockdim_kernelILj32ELj32Eii21rocsparse_complex_numIdES2_S2_S2_EEvb20rocsparse_direction_T2_S4_llNS_24const_host_device_scalarIT6_EEPKT1_PKS4_PKT3_S4_PKT4_llS7_PT5_ll16rocsparse_order_21rocsparse_index_base_b,"axG",@progbits,_ZN9rocsparseL29bsrmm_general_blockdim_kernelILj32ELj32Eii21rocsparse_complex_numIdES2_S2_S2_EEvb20rocsparse_direction_T2_S4_llNS_24const_host_device_scalarIT6_EEPKT1_PKS4_PKT3_S4_PKT4_llS7_PT5_ll16rocsparse_order_21rocsparse_index_base_b,comdat
.Lfunc_end9:
	.size	_ZN9rocsparseL29bsrmm_general_blockdim_kernelILj32ELj32Eii21rocsparse_complex_numIdES2_S2_S2_EEvb20rocsparse_direction_T2_S4_llNS_24const_host_device_scalarIT6_EEPKT1_PKS4_PKT3_S4_PKT4_llS7_PT5_ll16rocsparse_order_21rocsparse_index_base_b, .Lfunc_end9-_ZN9rocsparseL29bsrmm_general_blockdim_kernelILj32ELj32Eii21rocsparse_complex_numIdES2_S2_S2_EEvb20rocsparse_direction_T2_S4_llNS_24const_host_device_scalarIT6_EEPKT1_PKS4_PKT3_S4_PKT4_llS7_PT5_ll16rocsparse_order_21rocsparse_index_base_b
                                        ; -- End function
	.set _ZN9rocsparseL29bsrmm_general_blockdim_kernelILj32ELj32Eii21rocsparse_complex_numIdES2_S2_S2_EEvb20rocsparse_direction_T2_S4_llNS_24const_host_device_scalarIT6_EEPKT1_PKS4_PKT3_S4_PKT4_llS7_PT5_ll16rocsparse_order_21rocsparse_index_base_b.num_vgpr, 56
	.set _ZN9rocsparseL29bsrmm_general_blockdim_kernelILj32ELj32Eii21rocsparse_complex_numIdES2_S2_S2_EEvb20rocsparse_direction_T2_S4_llNS_24const_host_device_scalarIT6_EEPKT1_PKS4_PKT3_S4_PKT4_llS7_PT5_ll16rocsparse_order_21rocsparse_index_base_b.num_agpr, 0
	.set _ZN9rocsparseL29bsrmm_general_blockdim_kernelILj32ELj32Eii21rocsparse_complex_numIdES2_S2_S2_EEvb20rocsparse_direction_T2_S4_llNS_24const_host_device_scalarIT6_EEPKT1_PKS4_PKT3_S4_PKT4_llS7_PT5_ll16rocsparse_order_21rocsparse_index_base_b.numbered_sgpr, 46
	.set _ZN9rocsparseL29bsrmm_general_blockdim_kernelILj32ELj32Eii21rocsparse_complex_numIdES2_S2_S2_EEvb20rocsparse_direction_T2_S4_llNS_24const_host_device_scalarIT6_EEPKT1_PKS4_PKT3_S4_PKT4_llS7_PT5_ll16rocsparse_order_21rocsparse_index_base_b.num_named_barrier, 0
	.set _ZN9rocsparseL29bsrmm_general_blockdim_kernelILj32ELj32Eii21rocsparse_complex_numIdES2_S2_S2_EEvb20rocsparse_direction_T2_S4_llNS_24const_host_device_scalarIT6_EEPKT1_PKS4_PKT3_S4_PKT4_llS7_PT5_ll16rocsparse_order_21rocsparse_index_base_b.private_seg_size, 0
	.set _ZN9rocsparseL29bsrmm_general_blockdim_kernelILj32ELj32Eii21rocsparse_complex_numIdES2_S2_S2_EEvb20rocsparse_direction_T2_S4_llNS_24const_host_device_scalarIT6_EEPKT1_PKS4_PKT3_S4_PKT4_llS7_PT5_ll16rocsparse_order_21rocsparse_index_base_b.uses_vcc, 1
	.set _ZN9rocsparseL29bsrmm_general_blockdim_kernelILj32ELj32Eii21rocsparse_complex_numIdES2_S2_S2_EEvb20rocsparse_direction_T2_S4_llNS_24const_host_device_scalarIT6_EEPKT1_PKS4_PKT3_S4_PKT4_llS7_PT5_ll16rocsparse_order_21rocsparse_index_base_b.uses_flat_scratch, 0
	.set _ZN9rocsparseL29bsrmm_general_blockdim_kernelILj32ELj32Eii21rocsparse_complex_numIdES2_S2_S2_EEvb20rocsparse_direction_T2_S4_llNS_24const_host_device_scalarIT6_EEPKT1_PKS4_PKT3_S4_PKT4_llS7_PT5_ll16rocsparse_order_21rocsparse_index_base_b.has_dyn_sized_stack, 0
	.set _ZN9rocsparseL29bsrmm_general_blockdim_kernelILj32ELj32Eii21rocsparse_complex_numIdES2_S2_S2_EEvb20rocsparse_direction_T2_S4_llNS_24const_host_device_scalarIT6_EEPKT1_PKS4_PKT3_S4_PKT4_llS7_PT5_ll16rocsparse_order_21rocsparse_index_base_b.has_recursion, 0
	.set _ZN9rocsparseL29bsrmm_general_blockdim_kernelILj32ELj32Eii21rocsparse_complex_numIdES2_S2_S2_EEvb20rocsparse_direction_T2_S4_llNS_24const_host_device_scalarIT6_EEPKT1_PKS4_PKT3_S4_PKT4_llS7_PT5_ll16rocsparse_order_21rocsparse_index_base_b.has_indirect_call, 0
	.section	.AMDGPU.csdata,"",@progbits
; Kernel info:
; codeLenInByte = 2908
; TotalNumSgprs: 52
; NumVgprs: 56
; NumAgprs: 0
; TotalNumVgprs: 56
; ScratchSize: 0
; MemoryBound: 1
; FloatMode: 240
; IeeeMode: 1
; LDSByteSize: 32768 bytes/workgroup (compile time only)
; SGPRBlocks: 6
; VGPRBlocks: 6
; NumSGPRsForWavesPerEU: 52
; NumVGPRsForWavesPerEU: 56
; AccumOffset: 56
; Occupancy: 8
; WaveLimiterHint : 0
; COMPUTE_PGM_RSRC2:SCRATCH_EN: 0
; COMPUTE_PGM_RSRC2:USER_SGPR: 2
; COMPUTE_PGM_RSRC2:TRAP_HANDLER: 0
; COMPUTE_PGM_RSRC2:TGID_X_EN: 1
; COMPUTE_PGM_RSRC2:TGID_Y_EN: 1
; COMPUTE_PGM_RSRC2:TGID_Z_EN: 0
; COMPUTE_PGM_RSRC2:TIDIG_COMP_CNT: 1
; COMPUTE_PGM_RSRC3_GFX90A:ACCUM_OFFSET: 13
; COMPUTE_PGM_RSRC3_GFX90A:TG_SPLIT: 0
	.section	.text._ZN9rocsparseL29bsrmm_general_blockdim_kernelILj32ELj32Eli21rocsparse_complex_numIdES2_S2_S2_EEvb20rocsparse_direction_T2_S4_llNS_24const_host_device_scalarIT6_EEPKT1_PKS4_PKT3_S4_PKT4_llS7_PT5_ll16rocsparse_order_21rocsparse_index_base_b,"axG",@progbits,_ZN9rocsparseL29bsrmm_general_blockdim_kernelILj32ELj32Eli21rocsparse_complex_numIdES2_S2_S2_EEvb20rocsparse_direction_T2_S4_llNS_24const_host_device_scalarIT6_EEPKT1_PKS4_PKT3_S4_PKT4_llS7_PT5_ll16rocsparse_order_21rocsparse_index_base_b,comdat
	.globl	_ZN9rocsparseL29bsrmm_general_blockdim_kernelILj32ELj32Eli21rocsparse_complex_numIdES2_S2_S2_EEvb20rocsparse_direction_T2_S4_llNS_24const_host_device_scalarIT6_EEPKT1_PKS4_PKT3_S4_PKT4_llS7_PT5_ll16rocsparse_order_21rocsparse_index_base_b ; -- Begin function _ZN9rocsparseL29bsrmm_general_blockdim_kernelILj32ELj32Eli21rocsparse_complex_numIdES2_S2_S2_EEvb20rocsparse_direction_T2_S4_llNS_24const_host_device_scalarIT6_EEPKT1_PKS4_PKT3_S4_PKT4_llS7_PT5_ll16rocsparse_order_21rocsparse_index_base_b
	.p2align	8
	.type	_ZN9rocsparseL29bsrmm_general_blockdim_kernelILj32ELj32Eli21rocsparse_complex_numIdES2_S2_S2_EEvb20rocsparse_direction_T2_S4_llNS_24const_host_device_scalarIT6_EEPKT1_PKS4_PKT3_S4_PKT4_llS7_PT5_ll16rocsparse_order_21rocsparse_index_base_b,@function
_ZN9rocsparseL29bsrmm_general_blockdim_kernelILj32ELj32Eli21rocsparse_complex_numIdES2_S2_S2_EEvb20rocsparse_direction_T2_S4_llNS_24const_host_device_scalarIT6_EEPKT1_PKS4_PKT3_S4_PKT4_llS7_PT5_ll16rocsparse_order_21rocsparse_index_base_b: ; @_ZN9rocsparseL29bsrmm_general_blockdim_kernelILj32ELj32Eli21rocsparse_complex_numIdES2_S2_S2_EEvb20rocsparse_direction_T2_S4_llNS_24const_host_device_scalarIT6_EEPKT1_PKS4_PKT3_S4_PKT4_llS7_PT5_ll16rocsparse_order_21rocsparse_index_base_b
; %bb.0:
	s_load_dwordx2 s[6:7], s[0:1], 0x20
	s_load_dwordx4 s[8:11], s[0:1], 0x90
	s_mov_b32 s4, s3
	s_add_u32 s3, s0, 32
	s_addc_u32 s5, s1, 0
	s_add_u32 s12, s0, 0x68
	s_addc_u32 s13, s1, 0
	s_waitcnt lgkmcnt(0)
	s_bitcmp1_b32 s10, 0
	s_load_dwordx2 s[10:11], s[0:1], 0x68
	s_cselect_b32 s5, s5, s7
	s_cselect_b32 s3, s3, s6
	v_mov_b32_e32 v2, s3
	v_mov_b32_e32 v3, s5
	flat_load_dwordx4 v[2:5], v[2:3]
	s_waitcnt lgkmcnt(0)
	s_cselect_b32 s3, s13, s11
	s_cselect_b32 s5, s12, s10
	v_mov_b32_e32 v6, s5
	v_mov_b32_e32 v7, s3
	flat_load_dwordx4 v[6:9], v[6:7]
	s_waitcnt vmcnt(0)
	v_cmp_eq_f64_e32 vcc, 0, v[2:3]
	v_cmp_eq_f64_e64 s[6:7], 0, v[4:5]
	s_and_b64 s[12:13], vcc, s[6:7]
	s_mov_b64 s[6:7], -1
	s_and_saveexec_b64 s[10:11], s[12:13]
	s_cbranch_execz .LBB10_2
; %bb.1:
	s_waitcnt lgkmcnt(0)
	v_cmp_neq_f64_e32 vcc, 1.0, v[6:7]
	v_cmp_neq_f64_e64 s[6:7], 0, v[8:9]
	s_or_b64 s[6:7], vcc, s[6:7]
	s_orn2_b64 s[6:7], s[6:7], exec
.LBB10_2:
	s_or_b64 exec, exec, s[10:11]
	s_and_saveexec_b64 s[10:11], s[6:7]
	s_cbranch_execz .LBB10_50
; %bb.3:
	s_load_dwordx4 s[24:27], s[0:1], 0x0
	s_load_dwordx2 s[12:13], s[0:1], 0x30
	s_mov_b64 s[6:7], 0
	s_mov_b64 s[10:11], 0
	s_waitcnt lgkmcnt(0)
	s_cmp_lt_i32 s2, s26
	s_cselect_b64 s[30:31], -1, 0
	s_cmp_ge_i32 s2, s26
	s_cbranch_scc0 .LBB10_6
; %bb.4:
	s_andn2_b64 vcc, exec, s[30:31]
	s_cbranch_vccz .LBB10_7
.LBB10_5:
	s_load_dword s33, s[0:1], 0x48
	s_waitcnt lgkmcnt(0)
	s_cmp_lt_i32 s33, 1
	s_cbranch_scc0 .LBB10_8
	s_branch .LBB10_50
.LBB10_6:
	s_ashr_i32 s3, s2, 31
	s_lshl_b64 s[10:11], s[2:3], 3
	s_add_u32 s10, s12, s10
	s_addc_u32 s11, s13, s11
	s_load_dwordx2 s[10:11], s[10:11], 0x0
	s_waitcnt lgkmcnt(0)
	s_sub_u32 s10, s10, s9
	s_subb_u32 s11, s11, 0
	s_andn2_b64 vcc, exec, s[30:31]
	s_cbranch_vccnz .LBB10_5
.LBB10_7:
	s_ashr_i32 s3, s2, 31
	s_lshl_b64 s[6:7], s[2:3], 3
	s_add_u32 s6, s12, s6
	s_addc_u32 s7, s13, s7
	s_load_dwordx2 s[6:7], s[6:7], 0x8
	s_waitcnt lgkmcnt(0)
	s_sub_u32 s6, s6, s9
	s_subb_u32 s7, s7, 0
	s_load_dword s33, s[0:1], 0x48
	s_waitcnt lgkmcnt(0)
	s_cmp_lt_i32 s33, 1
	s_cbranch_scc1 .LBB10_50
.LBB10_8:
	s_load_dwordx4 s[12:15], s[0:1], 0x78
	s_load_dwordx4 s[16:19], s[0:1], 0x38
	;; [unrolled: 1-line block ×3, first 2 shown]
	v_bfe_u32 v29, v0, 10, 10
	s_bitcmp1_b32 s24, 0
	v_lshl_add_u32 v10, s4, 5, v29
	s_cselect_b64 s[0:1], -1, 0
	v_ashrrev_i32_e32 v11, 31, v10
	s_xor_b64 s[28:29], s[0:1], -1
	s_mul_i32 s44, s33, s2
	s_waitcnt lgkmcnt(0)
	v_mul_lo_u32 v18, s22, v11
	v_mul_lo_u32 v19, s23, v10
	v_mad_u64_u32 v[14:15], s[2:3], s22, v10, 0
	v_lshlrev_b64 v[16:17], 4, v[10:11]
	v_add3_u32 v15, v15, v18, v19
	s_cmp_lg_u32 s25, 0
	v_cmp_neq_f64_e32 vcc, 0, v[6:7]
	v_cmp_neq_f64_e64 s[2:3], 0, v[8:9]
	v_and_b32_e32 v28, 0x3ff, v0
	v_mov_b64_e32 v[12:13], s[6:7]
	v_cmp_gt_i32_e64 s[0:1], s27, v10
	v_lshl_add_u64 v[0:1], s[20:21], 0, v[16:17]
	v_lshl_add_u64 v[14:15], v[14:15], 4, s[20:21]
	s_cselect_b64 s[20:21], -1, 0
	s_or_b64 s[26:27], vcc, s[2:3]
	v_mul_lo_u32 v18, s14, v11
	v_mul_lo_u32 v19, s15, v10
	v_mad_u64_u32 v[10:11], s[2:3], s14, v10, 0
	v_lshlrev_b32_e32 v30, 4, v28
	s_and_b64 s[24:25], s[30:31], s[0:1]
	v_add3_u32 v11, v11, v18, v19
	v_cmp_lt_i64_e32 vcc, s[10:11], v[12:13]
	v_or_b32_e32 v20, 0x4000, v30
	v_lshlrev_b32_e32 v31, 9, v29
	s_cmp_lg_u32 s8, 1
	v_lshl_add_u64 v[18:19], v[10:11], 4, s[12:13]
	v_cndmask_b32_e64 v10, 0, 1, vcc
	s_mov_b32 s45, 0
	s_mul_i32 s46, s33, s33
	s_cselect_b64 s[30:31], -1, 0
	v_lshl_add_u64 v[16:17], s[12:13], 0, v[16:17]
	v_cmp_ne_u32_e64 s[2:3], 1, v10
	v_add_u32_e32 v32, v20, v31
	v_add_u32_e32 v33, v30, v31
	s_branch .LBB10_10
.LBB10_9:                               ;   in Loop: Header=BB10_10 Depth=1
	s_or_b64 exec, exec, s[4:5]
	s_add_i32 s45, s45, 32
	s_cmp_lt_i32 s45, s33
	s_cbranch_scc0 .LBB10_50
.LBB10_10:                              ; =>This Loop Header: Depth=1
                                        ;     Child Loop BB10_13 Depth 2
                                        ;       Child Loop BB10_15 Depth 3
	v_add_u32_e32 v34, s45, v28
	v_mov_b64_e32 v[20:21], 0
	s_and_b64 vcc, exec, s[2:3]
	v_cmp_gt_i32_e64 s[4:5], s33, v34
	v_mov_b64_e32 v[22:23], 0
	s_cbranch_vccnz .LBB10_39
; %bb.11:                               ;   in Loop: Header=BB10_10 Depth=1
	v_mul_lo_u32 v35, v34, s33
	v_mov_b64_e32 v[20:21], 0
	s_mov_b64 s[12:13], s[10:11]
	v_mov_b64_e32 v[22:23], 0
	s_branch .LBB10_13
.LBB10_12:                              ;   in Loop: Header=BB10_13 Depth=2
	s_add_u32 s12, s12, 1
	s_addc_u32 s13, s13, 0
	v_mov_b64_e32 v[10:11], s[6:7]
	v_cmp_ge_i64_e32 vcc, s[12:13], v[10:11]
	s_cbranch_vccnz .LBB10_39
.LBB10_13:                              ;   Parent Loop BB10_10 Depth=1
                                        ; =>  This Loop Header: Depth=2
                                        ;       Child Loop BB10_15 Depth 3
	s_lshl_b64 s[34:35], s[12:13], 2
	s_add_u32 s34, s16, s34
	s_addc_u32 s35, s17, s35
	s_load_dword s8, s[34:35], 0x0
	s_mul_i32 s35, s13, s46
	s_mul_hi_u32 s36, s12, s46
	s_mul_i32 s34, s12, s46
	s_add_i32 s35, s36, s35
	s_waitcnt lgkmcnt(0)
	s_sub_i32 s8, s8, s9
	s_lshl_b64 s[34:35], s[34:35], 4
	s_mul_i32 s8, s8, s33
	s_add_u32 s34, s18, s34
	s_addc_u32 s35, s19, s35
	v_add_u32_e32 v36, s8, v28
	s_mov_b32 s8, 0
	s_branch .LBB10_15
.LBB10_14:                              ;   in Loop: Header=BB10_15 Depth=3
	s_or_b64 exec, exec, s[36:37]
	s_waitcnt vmcnt(0)
	ds_write_b128 v33, v[10:13]
	s_waitcnt lgkmcnt(0)
	s_barrier
	ds_read_b128 v[10:13], v30
	ds_read_b128 v[24:27], v31 offset:16384
	ds_read_b128 v[38:41], v31 offset:16400
	;; [unrolled: 1-line block ×5, first 2 shown]
	s_waitcnt lgkmcnt(4)
	v_fmac_f64_e32 v[22:23], v[10:11], v[24:25]
	v_fmac_f64_e32 v[20:21], v[12:13], v[24:25]
	v_fma_f64 v[22:23], -v[12:13], v[26:27], v[22:23]
	v_fmac_f64_e32 v[20:21], v[10:11], v[26:27]
	ds_read_b128 v[10:13], v30 offset:1024
	s_waitcnt lgkmcnt(1)
	v_fmac_f64_e32 v[22:23], v[50:51], v[38:39]
	v_fma_f64 v[26:27], -v[52:53], v[40:41], v[22:23]
	ds_read_b128 v[22:25], v30 offset:1536
	v_fmac_f64_e32 v[20:21], v[52:53], v[38:39]
	v_fmac_f64_e32 v[20:21], v[50:51], v[40:41]
	s_waitcnt lgkmcnt(1)
	v_fmac_f64_e32 v[26:27], v[10:11], v[42:43]
	v_fmac_f64_e32 v[20:21], v[12:13], v[42:43]
	v_fma_f64 v[26:27], -v[12:13], v[44:45], v[26:27]
	v_fmac_f64_e32 v[20:21], v[10:11], v[44:45]
	ds_read_b128 v[10:13], v30 offset:2048
	ds_read_b128 v[38:41], v31 offset:16448
	s_waitcnt lgkmcnt(2)
	v_fmac_f64_e32 v[26:27], v[22:23], v[46:47]
	v_fmac_f64_e32 v[20:21], v[24:25], v[46:47]
	v_fma_f64 v[26:27], -v[24:25], v[48:49], v[26:27]
	v_fmac_f64_e32 v[20:21], v[22:23], v[48:49]
	ds_read_b128 v[22:25], v30 offset:2560
	ds_read_b128 v[42:45], v31 offset:16464
	;; [unrolled: 7-line block ×28, first 2 shown]
	s_waitcnt lgkmcnt(2)
	v_fmac_f64_e32 v[46:47], v[10:11], v[38:39]
	v_fmac_f64_e32 v[20:21], v[12:13], v[38:39]
	v_fma_f64 v[22:23], -v[12:13], v[40:41], v[46:47]
	v_fmac_f64_e32 v[20:21], v[10:11], v[40:41]
	s_waitcnt lgkmcnt(0)
	v_fmac_f64_e32 v[22:23], v[24:25], v[42:43]
	v_fmac_f64_e32 v[20:21], v[26:27], v[42:43]
	s_add_i32 s8, s8, 32
	v_fma_f64 v[22:23], -v[26:27], v[44:45], v[22:23]
	v_fmac_f64_e32 v[20:21], v[24:25], v[44:45]
	s_cmp_ge_i32 s8, s33
	s_barrier
	s_cbranch_scc1 .LBB10_12
.LBB10_15:                              ;   Parent Loop BB10_10 Depth=1
                                        ;     Parent Loop BB10_13 Depth=2
                                        ; =>    This Inner Loop Header: Depth=3
	s_and_b64 vcc, exec, s[28:29]
	s_cbranch_vccz .LBB10_21
; %bb.16:                               ;   in Loop: Header=BB10_15 Depth=3
	s_mov_b64 s[38:39], 0
	s_mov_b64 s[36:37], 0
                                        ; implicit-def: $vgpr24_vgpr25
	s_and_saveexec_b64 s[40:41], s[0:1]
	s_cbranch_execz .LBB10_20
; %bb.17:                               ;   in Loop: Header=BB10_15 Depth=3
	v_add_u32_e32 v10, s8, v28
	v_cmp_gt_i32_e32 vcc, s33, v10
                                        ; implicit-def: $vgpr24_vgpr25
	s_and_saveexec_b64 s[42:43], vcc
	s_xor_b64 s[42:43], exec, s[42:43]
; %bb.18:                               ;   in Loop: Header=BB10_15 Depth=3
	v_add_u32_e32 v10, s8, v36
	v_ashrrev_i32_e32 v11, 31, v10
	v_mul_lo_u32 v12, s22, v11
	v_mul_lo_u32 v13, s23, v10
	v_mad_u64_u32 v[10:11], s[48:49], s22, v10, 0
	v_add3_u32 v11, v11, v12, v13
	s_mov_b64 s[36:37], exec
	v_lshl_add_u64 v[24:25], v[10:11], 4, v[0:1]
; %bb.19:                               ;   in Loop: Header=BB10_15 Depth=3
	s_or_b64 exec, exec, s[42:43]
	s_and_b64 s[36:37], s[36:37], exec
.LBB10_20:                              ;   in Loop: Header=BB10_15 Depth=3
	s_or_b64 exec, exec, s[40:41]
	s_and_b64 vcc, exec, s[38:39]
	s_cbranch_vccnz .LBB10_22
	s_branch .LBB10_27
.LBB10_21:                              ;   in Loop: Header=BB10_15 Depth=3
	s_mov_b64 s[36:37], 0
                                        ; implicit-def: $vgpr24_vgpr25
	s_cbranch_execz .LBB10_27
.LBB10_22:                              ;   in Loop: Header=BB10_15 Depth=3
                                        ; implicit-def: $vgpr24_vgpr25
	s_and_saveexec_b64 s[38:39], s[0:1]
	s_cbranch_execz .LBB10_26
; %bb.23:                               ;   in Loop: Header=BB10_15 Depth=3
	v_add_u32_e32 v10, s8, v28
	v_cmp_gt_i32_e32 vcc, s33, v10
	s_mov_b64 s[42:43], s[36:37]
                                        ; implicit-def: $vgpr24_vgpr25
	s_and_saveexec_b64 s[40:41], vcc
; %bb.24:                               ;   in Loop: Header=BB10_15 Depth=3
	v_add_u32_e32 v10, s8, v36
	v_ashrrev_i32_e32 v11, 31, v10
	v_lshl_add_u64 v[24:25], v[10:11], 4, v[14:15]
	s_or_b64 s[42:43], s[36:37], exec
; %bb.25:                               ;   in Loop: Header=BB10_15 Depth=3
	s_or_b64 exec, exec, s[40:41]
	s_andn2_b64 s[36:37], s[36:37], exec
	s_and_b64 s[40:41], s[42:43], exec
	s_or_b64 s[36:37], s[36:37], s[40:41]
.LBB10_26:                              ;   in Loop: Header=BB10_15 Depth=3
	s_or_b64 exec, exec, s[38:39]
.LBB10_27:                              ;   in Loop: Header=BB10_15 Depth=3
	v_mov_b64_e32 v[10:11], 0
	v_mov_b64_e32 v[12:13], 0
	s_and_saveexec_b64 s[38:39], s[36:37]
	s_cbranch_execnz .LBB10_35
; %bb.28:                               ;   in Loop: Header=BB10_15 Depth=3
	s_or_b64 exec, exec, s[38:39]
	s_and_b64 vcc, exec, s[20:21]
	ds_write_b128 v32, v[10:13]
	s_cbranch_vccz .LBB10_36
.LBB10_29:                              ;   in Loop: Header=BB10_15 Depth=3
	s_mov_b64 s[36:37], 0
	s_mov_b64 s[38:39], 0
                                        ; implicit-def: $vgpr24
	s_and_saveexec_b64 s[40:41], s[4:5]
	s_cbranch_execz .LBB10_33
; %bb.30:                               ;   in Loop: Header=BB10_15 Depth=3
	v_add_u32_e32 v10, s8, v29
	v_cmp_gt_i32_e32 vcc, s33, v10
                                        ; implicit-def: $vgpr24
	s_and_saveexec_b64 s[42:43], vcc
	s_xor_b64 s[42:43], exec, s[42:43]
; %bb.31:                               ;   in Loop: Header=BB10_15 Depth=3
	s_mov_b64 s[38:39], exec
	v_mul_lo_u32 v24, v10, s33
; %bb.32:                               ;   in Loop: Header=BB10_15 Depth=3
	s_or_b64 exec, exec, s[42:43]
	s_and_b64 s[38:39], s[38:39], exec
.LBB10_33:                              ;   in Loop: Header=BB10_15 Depth=3
	s_or_b64 exec, exec, s[40:41]
	s_and_b64 vcc, exec, s[36:37]
	s_cbranch_vccz .LBB10_37
.LBB10_34:                              ;   in Loop: Header=BB10_15 Depth=3
	v_add_u32_e32 v24, s8, v29
	v_cmp_gt_i32_e32 vcc, s33, v24
	s_and_b64 s[36:37], s[4:5], vcc
	s_andn2_b64 s[38:39], s[38:39], exec
	s_and_b64 s[36:37], s[36:37], exec
	s_or_b64 s[38:39], s[38:39], s[36:37]
	v_mov_b32_e32 v26, v35
	v_mov_b64_e32 v[10:11], 0
	v_mov_b64_e32 v[12:13], 0
	s_and_saveexec_b64 s[36:37], s[38:39]
	s_cbranch_execz .LBB10_14
	s_branch .LBB10_38
.LBB10_35:                              ;   in Loop: Header=BB10_15 Depth=3
	global_load_dwordx4 v[10:13], v[24:25], off
	s_or_b64 exec, exec, s[38:39]
	s_and_b64 vcc, exec, s[20:21]
	s_waitcnt vmcnt(0)
	ds_write_b128 v32, v[10:13]
	s_cbranch_vccnz .LBB10_29
.LBB10_36:                              ;   in Loop: Header=BB10_15 Depth=3
	s_mov_b64 s[38:39], 0
                                        ; implicit-def: $vgpr24
	s_cbranch_execnz .LBB10_34
.LBB10_37:                              ;   in Loop: Header=BB10_15 Depth=3
	v_mov_b32_e32 v26, v34
	v_mov_b64_e32 v[10:11], 0
	v_mov_b64_e32 v[12:13], 0
	s_and_saveexec_b64 s[36:37], s[38:39]
	s_cbranch_execz .LBB10_14
.LBB10_38:                              ;   in Loop: Header=BB10_15 Depth=3
	v_ashrrev_i32_e32 v27, 31, v26
	v_lshl_add_u64 v[10:11], v[26:27], 4, s[34:35]
	v_ashrrev_i32_e32 v25, 31, v24
	v_lshl_add_u64 v[10:11], v[24:25], 4, v[10:11]
	global_load_dwordx4 v[10:13], v[10:11], off
	s_branch .LBB10_14
.LBB10_39:                              ;   in Loop: Header=BB10_10 Depth=1
	v_cmp_gt_i32_e32 vcc, s33, v34
	s_and_b64 s[12:13], s[24:25], vcc
	s_and_saveexec_b64 s[4:5], s[12:13]
	s_cbranch_execz .LBB10_9
; %bb.40:                               ;   in Loop: Header=BB10_10 Depth=1
	v_add_u32_e32 v24, s44, v34
	v_ashrrev_i32_e32 v25, 31, v24
	s_and_saveexec_b64 s[12:13], s[26:27]
	s_xor_b64 s[12:13], exec, s[12:13]
	s_cbranch_execz .LBB10_45
; %bb.41:                               ;   in Loop: Header=BB10_10 Depth=1
	s_mov_b64 s[34:35], -1
	s_and_b64 vcc, exec, s[30:31]
	s_cbranch_vccz .LBB10_43
; %bb.42:                               ;   in Loop: Header=BB10_10 Depth=1
	v_mul_lo_u32 v12, s15, v24
	v_mul_lo_u32 v13, s14, v25
	v_mad_u64_u32 v[10:11], s[34:35], s14, v24, 0
	v_add3_u32 v11, v11, v13, v12
	v_lshl_add_u64 v[26:27], v[10:11], 4, v[16:17]
	global_load_dwordx4 v[10:13], v[26:27], off
	v_mul_f64 v[34:35], v[20:21], -v[4:5]
	v_mul_f64 v[36:37], v[2:3], v[20:21]
	v_fmac_f64_e32 v[34:35], v[2:3], v[22:23]
	v_fmac_f64_e32 v[36:37], v[4:5], v[22:23]
	s_mov_b64 s[34:35], 0
	s_waitcnt vmcnt(0)
	v_fmac_f64_e32 v[34:35], v[6:7], v[10:11]
	v_fmac_f64_e32 v[36:37], v[8:9], v[10:11]
	v_fma_f64 v[34:35], -v[8:9], v[12:13], v[34:35]
	v_fmac_f64_e32 v[36:37], v[6:7], v[12:13]
	global_store_dwordx4 v[26:27], v[34:37], off
.LBB10_43:                              ;   in Loop: Header=BB10_10 Depth=1
	s_andn2_b64 vcc, exec, s[34:35]
	s_cbranch_vccnz .LBB10_45
; %bb.44:                               ;   in Loop: Header=BB10_10 Depth=1
	v_lshl_add_u64 v[26:27], v[24:25], 4, v[18:19]
	global_load_dwordx4 v[10:13], v[26:27], off
	v_mul_f64 v[34:35], v[20:21], -v[4:5]
	v_mul_f64 v[24:25], v[2:3], v[20:21]
	v_fmac_f64_e32 v[34:35], v[2:3], v[22:23]
	v_fmac_f64_e32 v[24:25], v[4:5], v[22:23]
                                        ; implicit-def: $vgpr20_vgpr21
	s_waitcnt vmcnt(0)
	v_fmac_f64_e32 v[34:35], v[6:7], v[10:11]
	v_fmac_f64_e32 v[24:25], v[8:9], v[10:11]
	v_fma_f64 v[22:23], -v[8:9], v[12:13], v[34:35]
	v_fmac_f64_e32 v[24:25], v[6:7], v[12:13]
	global_store_dwordx4 v[26:27], v[22:25], off
                                        ; implicit-def: $vgpr22_vgpr23
                                        ; implicit-def: $vgpr24
.LBB10_45:                              ;   in Loop: Header=BB10_10 Depth=1
	s_andn2_saveexec_b64 s[12:13], s[12:13]
	s_cbranch_execz .LBB10_9
; %bb.46:                               ;   in Loop: Header=BB10_10 Depth=1
	v_mul_f64 v[10:11], v[20:21], -v[4:5]
	v_mul_f64 v[12:13], v[2:3], v[20:21]
	v_fmac_f64_e32 v[10:11], v[2:3], v[22:23]
	v_fmac_f64_e32 v[12:13], v[4:5], v[22:23]
	s_mov_b64 s[12:13], -1
	s_and_b64 vcc, exec, s[30:31]
	s_cbranch_vccz .LBB10_48
; %bb.47:                               ;   in Loop: Header=BB10_10 Depth=1
	v_mul_lo_u32 v22, s15, v24
	v_mul_lo_u32 v23, s14, v25
	v_mad_u64_u32 v[20:21], s[12:13], s14, v24, 0
	v_add3_u32 v21, v21, v23, v22
	v_lshl_add_u64 v[20:21], v[20:21], 4, v[16:17]
	global_store_dwordx4 v[20:21], v[10:13], off
	s_mov_b64 s[12:13], 0
.LBB10_48:                              ;   in Loop: Header=BB10_10 Depth=1
	s_andn2_b64 vcc, exec, s[12:13]
	s_cbranch_vccnz .LBB10_9
; %bb.49:                               ;   in Loop: Header=BB10_10 Depth=1
	v_lshl_add_u64 v[20:21], v[24:25], 4, v[18:19]
	global_store_dwordx4 v[20:21], v[10:13], off
	s_branch .LBB10_9
.LBB10_50:
	s_endpgm
	.section	.rodata,"a",@progbits
	.p2align	6, 0x0
	.amdhsa_kernel _ZN9rocsparseL29bsrmm_general_blockdim_kernelILj32ELj32Eli21rocsparse_complex_numIdES2_S2_S2_EEvb20rocsparse_direction_T2_S4_llNS_24const_host_device_scalarIT6_EEPKT1_PKS4_PKT3_S4_PKT4_llS7_PT5_ll16rocsparse_order_21rocsparse_index_base_b
		.amdhsa_group_segment_fixed_size 32768
		.amdhsa_private_segment_fixed_size 0
		.amdhsa_kernarg_size 156
		.amdhsa_user_sgpr_count 2
		.amdhsa_user_sgpr_dispatch_ptr 0
		.amdhsa_user_sgpr_queue_ptr 0
		.amdhsa_user_sgpr_kernarg_segment_ptr 1
		.amdhsa_user_sgpr_dispatch_id 0
		.amdhsa_user_sgpr_kernarg_preload_length 0
		.amdhsa_user_sgpr_kernarg_preload_offset 0
		.amdhsa_user_sgpr_private_segment_size 0
		.amdhsa_uses_dynamic_stack 0
		.amdhsa_enable_private_segment 0
		.amdhsa_system_sgpr_workgroup_id_x 1
		.amdhsa_system_sgpr_workgroup_id_y 1
		.amdhsa_system_sgpr_workgroup_id_z 0
		.amdhsa_system_sgpr_workgroup_info 0
		.amdhsa_system_vgpr_workitem_id 1
		.amdhsa_next_free_vgpr 54
		.amdhsa_next_free_sgpr 50
		.amdhsa_accum_offset 56
		.amdhsa_reserve_vcc 1
		.amdhsa_float_round_mode_32 0
		.amdhsa_float_round_mode_16_64 0
		.amdhsa_float_denorm_mode_32 3
		.amdhsa_float_denorm_mode_16_64 3
		.amdhsa_dx10_clamp 1
		.amdhsa_ieee_mode 1
		.amdhsa_fp16_overflow 0
		.amdhsa_tg_split 0
		.amdhsa_exception_fp_ieee_invalid_op 0
		.amdhsa_exception_fp_denorm_src 0
		.amdhsa_exception_fp_ieee_div_zero 0
		.amdhsa_exception_fp_ieee_overflow 0
		.amdhsa_exception_fp_ieee_underflow 0
		.amdhsa_exception_fp_ieee_inexact 0
		.amdhsa_exception_int_div_zero 0
	.end_amdhsa_kernel
	.section	.text._ZN9rocsparseL29bsrmm_general_blockdim_kernelILj32ELj32Eli21rocsparse_complex_numIdES2_S2_S2_EEvb20rocsparse_direction_T2_S4_llNS_24const_host_device_scalarIT6_EEPKT1_PKS4_PKT3_S4_PKT4_llS7_PT5_ll16rocsparse_order_21rocsparse_index_base_b,"axG",@progbits,_ZN9rocsparseL29bsrmm_general_blockdim_kernelILj32ELj32Eli21rocsparse_complex_numIdES2_S2_S2_EEvb20rocsparse_direction_T2_S4_llNS_24const_host_device_scalarIT6_EEPKT1_PKS4_PKT3_S4_PKT4_llS7_PT5_ll16rocsparse_order_21rocsparse_index_base_b,comdat
.Lfunc_end10:
	.size	_ZN9rocsparseL29bsrmm_general_blockdim_kernelILj32ELj32Eli21rocsparse_complex_numIdES2_S2_S2_EEvb20rocsparse_direction_T2_S4_llNS_24const_host_device_scalarIT6_EEPKT1_PKS4_PKT3_S4_PKT4_llS7_PT5_ll16rocsparse_order_21rocsparse_index_base_b, .Lfunc_end10-_ZN9rocsparseL29bsrmm_general_blockdim_kernelILj32ELj32Eli21rocsparse_complex_numIdES2_S2_S2_EEvb20rocsparse_direction_T2_S4_llNS_24const_host_device_scalarIT6_EEPKT1_PKS4_PKT3_S4_PKT4_llS7_PT5_ll16rocsparse_order_21rocsparse_index_base_b
                                        ; -- End function
	.set _ZN9rocsparseL29bsrmm_general_blockdim_kernelILj32ELj32Eli21rocsparse_complex_numIdES2_S2_S2_EEvb20rocsparse_direction_T2_S4_llNS_24const_host_device_scalarIT6_EEPKT1_PKS4_PKT3_S4_PKT4_llS7_PT5_ll16rocsparse_order_21rocsparse_index_base_b.num_vgpr, 54
	.set _ZN9rocsparseL29bsrmm_general_blockdim_kernelILj32ELj32Eli21rocsparse_complex_numIdES2_S2_S2_EEvb20rocsparse_direction_T2_S4_llNS_24const_host_device_scalarIT6_EEPKT1_PKS4_PKT3_S4_PKT4_llS7_PT5_ll16rocsparse_order_21rocsparse_index_base_b.num_agpr, 0
	.set _ZN9rocsparseL29bsrmm_general_blockdim_kernelILj32ELj32Eli21rocsparse_complex_numIdES2_S2_S2_EEvb20rocsparse_direction_T2_S4_llNS_24const_host_device_scalarIT6_EEPKT1_PKS4_PKT3_S4_PKT4_llS7_PT5_ll16rocsparse_order_21rocsparse_index_base_b.numbered_sgpr, 50
	.set _ZN9rocsparseL29bsrmm_general_blockdim_kernelILj32ELj32Eli21rocsparse_complex_numIdES2_S2_S2_EEvb20rocsparse_direction_T2_S4_llNS_24const_host_device_scalarIT6_EEPKT1_PKS4_PKT3_S4_PKT4_llS7_PT5_ll16rocsparse_order_21rocsparse_index_base_b.num_named_barrier, 0
	.set _ZN9rocsparseL29bsrmm_general_blockdim_kernelILj32ELj32Eli21rocsparse_complex_numIdES2_S2_S2_EEvb20rocsparse_direction_T2_S4_llNS_24const_host_device_scalarIT6_EEPKT1_PKS4_PKT3_S4_PKT4_llS7_PT5_ll16rocsparse_order_21rocsparse_index_base_b.private_seg_size, 0
	.set _ZN9rocsparseL29bsrmm_general_blockdim_kernelILj32ELj32Eli21rocsparse_complex_numIdES2_S2_S2_EEvb20rocsparse_direction_T2_S4_llNS_24const_host_device_scalarIT6_EEPKT1_PKS4_PKT3_S4_PKT4_llS7_PT5_ll16rocsparse_order_21rocsparse_index_base_b.uses_vcc, 1
	.set _ZN9rocsparseL29bsrmm_general_blockdim_kernelILj32ELj32Eli21rocsparse_complex_numIdES2_S2_S2_EEvb20rocsparse_direction_T2_S4_llNS_24const_host_device_scalarIT6_EEPKT1_PKS4_PKT3_S4_PKT4_llS7_PT5_ll16rocsparse_order_21rocsparse_index_base_b.uses_flat_scratch, 0
	.set _ZN9rocsparseL29bsrmm_general_blockdim_kernelILj32ELj32Eli21rocsparse_complex_numIdES2_S2_S2_EEvb20rocsparse_direction_T2_S4_llNS_24const_host_device_scalarIT6_EEPKT1_PKS4_PKT3_S4_PKT4_llS7_PT5_ll16rocsparse_order_21rocsparse_index_base_b.has_dyn_sized_stack, 0
	.set _ZN9rocsparseL29bsrmm_general_blockdim_kernelILj32ELj32Eli21rocsparse_complex_numIdES2_S2_S2_EEvb20rocsparse_direction_T2_S4_llNS_24const_host_device_scalarIT6_EEPKT1_PKS4_PKT3_S4_PKT4_llS7_PT5_ll16rocsparse_order_21rocsparse_index_base_b.has_recursion, 0
	.set _ZN9rocsparseL29bsrmm_general_blockdim_kernelILj32ELj32Eli21rocsparse_complex_numIdES2_S2_S2_EEvb20rocsparse_direction_T2_S4_llNS_24const_host_device_scalarIT6_EEPKT1_PKS4_PKT3_S4_PKT4_llS7_PT5_ll16rocsparse_order_21rocsparse_index_base_b.has_indirect_call, 0
	.section	.AMDGPU.csdata,"",@progbits
; Kernel info:
; codeLenInByte = 2908
; TotalNumSgprs: 56
; NumVgprs: 54
; NumAgprs: 0
; TotalNumVgprs: 54
; ScratchSize: 0
; MemoryBound: 1
; FloatMode: 240
; IeeeMode: 1
; LDSByteSize: 32768 bytes/workgroup (compile time only)
; SGPRBlocks: 6
; VGPRBlocks: 6
; NumSGPRsForWavesPerEU: 56
; NumVGPRsForWavesPerEU: 54
; AccumOffset: 56
; Occupancy: 8
; WaveLimiterHint : 0
; COMPUTE_PGM_RSRC2:SCRATCH_EN: 0
; COMPUTE_PGM_RSRC2:USER_SGPR: 2
; COMPUTE_PGM_RSRC2:TRAP_HANDLER: 0
; COMPUTE_PGM_RSRC2:TGID_X_EN: 1
; COMPUTE_PGM_RSRC2:TGID_Y_EN: 1
; COMPUTE_PGM_RSRC2:TGID_Z_EN: 0
; COMPUTE_PGM_RSRC2:TIDIG_COMP_CNT: 1
; COMPUTE_PGM_RSRC3_GFX90A:ACCUM_OFFSET: 13
; COMPUTE_PGM_RSRC3_GFX90A:TG_SPLIT: 0
	.section	.text._ZN9rocsparseL29bsrmm_general_blockdim_kernelILj32ELj32Ell21rocsparse_complex_numIdES2_S2_S2_EEvb20rocsparse_direction_T2_S4_llNS_24const_host_device_scalarIT6_EEPKT1_PKS4_PKT3_S4_PKT4_llS7_PT5_ll16rocsparse_order_21rocsparse_index_base_b,"axG",@progbits,_ZN9rocsparseL29bsrmm_general_blockdim_kernelILj32ELj32Ell21rocsparse_complex_numIdES2_S2_S2_EEvb20rocsparse_direction_T2_S4_llNS_24const_host_device_scalarIT6_EEPKT1_PKS4_PKT3_S4_PKT4_llS7_PT5_ll16rocsparse_order_21rocsparse_index_base_b,comdat
	.globl	_ZN9rocsparseL29bsrmm_general_blockdim_kernelILj32ELj32Ell21rocsparse_complex_numIdES2_S2_S2_EEvb20rocsparse_direction_T2_S4_llNS_24const_host_device_scalarIT6_EEPKT1_PKS4_PKT3_S4_PKT4_llS7_PT5_ll16rocsparse_order_21rocsparse_index_base_b ; -- Begin function _ZN9rocsparseL29bsrmm_general_blockdim_kernelILj32ELj32Ell21rocsparse_complex_numIdES2_S2_S2_EEvb20rocsparse_direction_T2_S4_llNS_24const_host_device_scalarIT6_EEPKT1_PKS4_PKT3_S4_PKT4_llS7_PT5_ll16rocsparse_order_21rocsparse_index_base_b
	.p2align	8
	.type	_ZN9rocsparseL29bsrmm_general_blockdim_kernelILj32ELj32Ell21rocsparse_complex_numIdES2_S2_S2_EEvb20rocsparse_direction_T2_S4_llNS_24const_host_device_scalarIT6_EEPKT1_PKS4_PKT3_S4_PKT4_llS7_PT5_ll16rocsparse_order_21rocsparse_index_base_b,@function
_ZN9rocsparseL29bsrmm_general_blockdim_kernelILj32ELj32Ell21rocsparse_complex_numIdES2_S2_S2_EEvb20rocsparse_direction_T2_S4_llNS_24const_host_device_scalarIT6_EEPKT1_PKS4_PKT3_S4_PKT4_llS7_PT5_ll16rocsparse_order_21rocsparse_index_base_b: ; @_ZN9rocsparseL29bsrmm_general_blockdim_kernelILj32ELj32Ell21rocsparse_complex_numIdES2_S2_S2_EEvb20rocsparse_direction_T2_S4_llNS_24const_host_device_scalarIT6_EEPKT1_PKS4_PKT3_S4_PKT4_llS7_PT5_ll16rocsparse_order_21rocsparse_index_base_b
; %bb.0:
	s_load_dwordx2 s[4:5], s[0:1], 0x28
	s_load_dwordx4 s[20:23], s[0:1], 0x98
	s_mov_b32 s6, s3
	s_add_u32 s3, s0, 40
	s_addc_u32 s7, s1, 0
	s_add_u32 s10, s0, 0x70
	s_load_dwordx2 s[8:9], s[0:1], 0x70
	s_addc_u32 s11, s1, 0
	s_waitcnt lgkmcnt(0)
	s_bitcmp1_b32 s22, 0
	s_cselect_b32 s5, s7, s5
	s_cselect_b32 s3, s3, s4
	v_mov_b32_e32 v2, s3
	v_mov_b32_e32 v3, s5
	flat_load_dwordx4 v[2:5], v[2:3]
	s_cselect_b32 s3, s11, s9
	s_cselect_b32 s4, s10, s8
	v_mov_b32_e32 v6, s4
	v_mov_b32_e32 v7, s3
	flat_load_dwordx4 v[6:9], v[6:7]
	s_waitcnt vmcnt(0) lgkmcnt(0)
	v_cmp_eq_f64_e32 vcc, 0, v[2:3]
	v_cmp_eq_f64_e64 s[4:5], 0, v[4:5]
	s_and_b64 s[10:11], vcc, s[4:5]
	s_mov_b64 s[4:5], -1
	s_and_saveexec_b64 s[8:9], s[10:11]
; %bb.1:
	v_cmp_neq_f64_e32 vcc, 1.0, v[6:7]
	v_cmp_neq_f64_e64 s[4:5], 0, v[8:9]
	s_or_b64 s[4:5], vcc, s[4:5]
	s_orn2_b64 s[4:5], s[4:5], exec
; %bb.2:
	s_or_b64 exec, exec, s[8:9]
	s_and_saveexec_b64 s[8:9], s[4:5]
	s_cbranch_execz .LBB11_50
; %bb.3:
	s_load_dwordx4 s[24:27], s[0:1], 0x8
	s_load_dwordx2 s[8:9], s[0:1], 0x38
	s_ashr_i32 s3, s2, 31
	v_mov_b64_e32 v[10:11], s[2:3]
	s_mov_b64 s[22:23], 0
	s_waitcnt lgkmcnt(0)
	v_cmp_le_i64_e32 vcc, s[24:25], v[10:11]
	v_cmp_gt_i64_e64 s[4:5], s[24:25], v[10:11]
	s_mov_b64 s[24:25], 0
	s_cbranch_vccz .LBB11_6
; %bb.4:
	s_andn2_b64 vcc, exec, s[4:5]
	s_cbranch_vccz .LBB11_7
.LBB11_5:
	s_load_dwordx2 s[28:29], s[0:1], 0x50
	s_waitcnt lgkmcnt(0)
	v_cmp_lt_i64_e64 s[8:9], s[28:29], 1
	s_and_b64 vcc, exec, s[8:9]
	s_cbranch_vccz .LBB11_8
	s_branch .LBB11_50
.LBB11_6:
	s_lshl_b64 s[10:11], s[2:3], 3
	s_add_u32 s10, s8, s10
	s_addc_u32 s11, s9, s11
	s_load_dwordx2 s[10:11], s[10:11], 0x0
	s_waitcnt lgkmcnt(0)
	s_sub_u32 s24, s10, s21
	s_subb_u32 s25, s11, 0
	s_andn2_b64 vcc, exec, s[4:5]
	s_cbranch_vccnz .LBB11_5
.LBB11_7:
	s_lshl_b64 s[10:11], s[2:3], 3
	s_add_u32 s8, s8, s10
	s_addc_u32 s9, s9, s11
	s_load_dwordx2 s[8:9], s[8:9], 0x8
	s_waitcnt lgkmcnt(0)
	s_sub_u32 s22, s8, s21
	s_subb_u32 s23, s9, 0
	s_load_dwordx2 s[28:29], s[0:1], 0x50
	s_waitcnt lgkmcnt(0)
	v_cmp_lt_i64_e64 s[8:9], s[28:29], 1
	s_and_b64 vcc, exec, s[8:9]
	s_cbranch_vccnz .LBB11_50
.LBB11_8:
	s_load_dwordx4 s[8:11], s[0:1], 0x80
	s_load_dwordx4 s[12:15], s[0:1], 0x58
	;; [unrolled: 1-line block ×3, first 2 shown]
	s_load_dwordx2 s[36:37], s[0:1], 0x0
	v_bfe_u32 v14, v0, 10, 10
	v_lshl_add_u32 v10, s6, 5, v14
	v_mov_b32_e32 v11, 0
	v_lshlrev_b64 v[12:13], 4, v[10:11]
	s_waitcnt lgkmcnt(0)
	s_bitcmp1_b32 s36, 0
	s_cselect_b64 s[0:1], -1, 0
	s_xor_b64 s[6:7], s[0:1], -1
	s_mul_i32 s0, s29, s2
	s_mul_hi_u32 s1, s28, s2
	s_add_i32 s31, s1, s0
	s_mul_i32 s0, s28, s29
	s_mul_hi_u32 s1, s28, s28
	s_add_i32 s1, s1, s0
	s_add_i32 s35, s1, s0
	s_mul_i32 s30, s28, s2
	s_cmp_lg_u32 s37, 0
	v_cmp_neq_f64_e32 vcc, 0, v[6:7]
	v_cmp_neq_f64_e64 s[2:3], 0, v[8:9]
	v_lshl_add_u64 v[16:17], s[8:9], 0, v[12:13]
	v_lshl_add_u64 v[18:19], s[12:13], 0, v[12:13]
	v_cmp_gt_i64_e64 s[0:1], s[26:27], v[10:11]
	s_cselect_b64 s[26:27], -1, 0
	s_or_b64 s[40:41], vcc, s[2:3]
	v_mad_u64_u32 v[12:13], s[2:3], s10, v10, 0
	v_mov_b32_e32 v22, v13
	v_mad_u64_u32 v[22:23], s[2:3], s11, v10, v[22:23]
	v_mov_b32_e32 v13, v22
	v_lshl_add_u64 v[22:23], v[12:13], 4, s[8:9]
	v_mad_u64_u32 v[12:13], s[2:3], s14, v10, 0
	v_mov_b32_e32 v24, v13
	s_and_b64 s[36:37], s[4:5], s[0:1]
	v_mad_u64_u32 v[24:25], s[2:3], s15, v10, v[24:25]
	v_and_b32_e32 v0, 0x3ff, v0
	s_cmp_lg_u32 s20, 1
	s_mul_i32 s2, s24, s29
	s_mul_hi_u32 s3, s24, s28
	s_mov_b32 s33, s21
	v_lshlrev_b32_e32 v20, 4, v0
	s_cselect_b64 s[20:21], -1, 0
	v_mov_b32_e32 v13, v24
	v_mov_b32_e32 v21, v11
	s_add_i32 s2, s3, s2
	s_mul_i32 s3, s25, s28
	v_lshl_add_u64 v[12:13], v[12:13], 4, v[20:21]
	s_add_i32 s3, s2, s3
	s_mul_i32 s2, s24, s28
	v_lshl_add_u64 v[24:25], s[12:13], 0, v[12:13]
	v_lshl_add_u64 v[12:13], s[2:3], 4, v[20:21]
	v_lshlrev_b32_e32 v10, 4, v14
	v_mov_b32_e32 v1, v11
	v_mov_b64_e32 v[28:29], s[22:23]
	v_mov_b32_e32 v15, v11
	v_mul_lo_u32 v13, s28, v13
	v_mul_lo_u32 v21, s29, v12
	v_mad_u64_u32 v[10:11], s[2:3], s28, v12, v[10:11]
	v_add3_u32 v11, v21, v11, v13
	v_cmp_lt_i64_e32 vcc, s[24:25], v[28:29]
	s_mul_i32 s34, s28, s28
	v_or_b32_e32 v30, 0x4000, v20
	v_lshlrev_b32_e32 v46, 9, v14
	v_lshl_add_u64 v[26:27], s[18:19], 0, v[10:11]
	v_cndmask_b32_e64 v10, 0, 1, vcc
	s_mov_b64 s[38:39], 0
	s_lshl_b64 s[8:9], s[28:29], 4
	s_lshl_b64 s[12:13], s[28:29], 9
	;; [unrolled: 1-line block ×3, first 2 shown]
	v_cmp_ne_u32_e64 s[2:3], 1, v10
	v_add_u32_e32 v21, v30, v46
	s_mov_b64 s[44:45], 0x200
	v_add_u32_e32 v47, v20, v46
	s_branch .LBB11_10
.LBB11_9:                               ;   in Loop: Header=BB11_10 Depth=1
	s_or_b64 exec, exec, s[4:5]
	s_add_u32 s38, s38, 32
	s_addc_u32 s39, s39, 0
	v_mov_b64_e32 v[10:11], s[28:29]
	v_cmp_lt_i64_e32 vcc, s[38:39], v[10:11]
	v_lshl_add_u64 v[26:27], v[26:27], 0, s[12:13]
	s_cbranch_vccz .LBB11_50
.LBB11_10:                              ; =>This Loop Header: Depth=1
                                        ;     Child Loop BB11_13 Depth 2
                                        ;       Child Loop BB11_15 Depth 3
	v_lshl_add_u64 v[30:31], s[38:39], 0, v[0:1]
	v_mov_b64_e32 v[28:29], 0
	s_and_b64 vcc, exec, s[2:3]
	v_cmp_gt_i64_e64 s[4:5], s[28:29], v[30:31]
	v_mov_b64_e32 v[42:43], 0
	s_cbranch_vccnz .LBB11_39
; %bb.11:                               ;   in Loop: Header=BB11_10 Depth=1
	v_lshl_add_u64 v[32:33], v[30:31], 4, s[18:19]
	v_mov_b64_e32 v[28:29], 0
	v_mov_b64_e32 v[34:35], v[26:27]
	s_mov_b64 s[46:47], s[24:25]
	v_mov_b64_e32 v[42:43], 0
	s_branch .LBB11_13
.LBB11_12:                              ;   in Loop: Header=BB11_13 Depth=2
	s_add_u32 s46, s46, 1
	s_addc_u32 s47, s47, 0
	v_mov_b64_e32 v[10:11], s[22:23]
	v_cmp_ge_i64_e32 vcc, s[46:47], v[10:11]
	v_lshl_add_u64 v[34:35], v[34:35], 0, s[42:43]
	s_cbranch_vccnz .LBB11_39
.LBB11_13:                              ;   Parent Loop BB11_10 Depth=1
                                        ; =>  This Loop Header: Depth=2
                                        ;       Child Loop BB11_15 Depth 3
	s_mul_i32 s48, s34, s47
	s_mul_hi_u32 s49, s34, s46
	s_add_i32 s48, s49, s48
	s_mul_i32 s49, s35, s46
	s_add_i32 s51, s48, s49
	s_lshl_b64 s[48:49], s[46:47], 3
	s_add_u32 s48, s16, s48
	s_addc_u32 s49, s17, s49
	s_load_dwordx2 s[48:49], s[48:49], 0x0
	s_mul_i32 s50, s34, s46
	v_lshl_add_u64 v[36:37], s[50:51], 4, v[32:33]
	v_mov_b64_e32 v[40:41], v[34:35]
	s_waitcnt lgkmcnt(0)
	s_sub_u32 s52, s48, s33
	s_subb_u32 s53, s49, 0
	s_mul_i32 s48, s52, s29
	s_mul_hi_u32 s49, s52, s28
	s_mul_i32 s50, s9, s52
	s_mul_i32 s51, s8, s53
	v_mov_b32_e32 v10, s52
	s_add_i32 s48, s49, s48
	s_mul_i32 s49, s53, s28
	s_add_i32 s53, s51, s50
	v_mad_u64_u32 v[38:39], s[50:51], s8, v10, v[24:25]
	s_add_i32 s49, s48, s49
	s_mul_i32 s48, s52, s28
	v_add_u32_e32 v39, s53, v39
	s_mov_b64 s[50:51], 0
	s_branch .LBB11_15
.LBB11_14:                              ;   in Loop: Header=BB11_15 Depth=3
	s_or_b64 exec, exec, s[54:55]
	s_waitcnt vmcnt(0)
	ds_write_b128 v47, v[10:13]
	s_waitcnt lgkmcnt(0)
	s_barrier
	ds_read_b128 v[10:13], v20
	ds_read_b128 v[48:51], v46 offset:16384
	ds_read_b128 v[52:55], v46 offset:16400
	;; [unrolled: 1-line block ×5, first 2 shown]
	s_waitcnt lgkmcnt(4)
	v_fmac_f64_e32 v[42:43], v[10:11], v[48:49]
	v_fmac_f64_e32 v[28:29], v[12:13], v[48:49]
	v_fma_f64 v[42:43], -v[12:13], v[50:51], v[42:43]
	v_fmac_f64_e32 v[28:29], v[10:11], v[50:51]
	ds_read_b128 v[10:13], v20 offset:1024
	s_waitcnt lgkmcnt(1)
	v_fmac_f64_e32 v[42:43], v[64:65], v[52:53]
	v_fma_f64 v[48:49], -v[66:67], v[54:55], v[42:43]
	ds_read_b128 v[42:45], v20 offset:1536
	v_fmac_f64_e32 v[28:29], v[66:67], v[52:53]
	s_waitcnt lgkmcnt(1)
	v_fmac_f64_e32 v[48:49], v[10:11], v[56:57]
	v_fmac_f64_e32 v[28:29], v[64:65], v[54:55]
	v_fma_f64 v[48:49], -v[12:13], v[58:59], v[48:49]
	v_fmac_f64_e32 v[28:29], v[12:13], v[56:57]
	s_waitcnt lgkmcnt(0)
	v_fmac_f64_e32 v[48:49], v[42:43], v[60:61]
	v_fmac_f64_e32 v[28:29], v[10:11], v[58:59]
	v_fma_f64 v[56:57], -v[44:45], v[62:63], v[48:49]
	ds_read_b128 v[10:13], v20 offset:2048
	ds_read_b128 v[48:51], v46 offset:16448
	v_fmac_f64_e32 v[28:29], v[44:45], v[60:61]
	v_fmac_f64_e32 v[28:29], v[42:43], v[62:63]
	ds_read_b128 v[42:45], v20 offset:2560
	ds_read_b128 v[52:55], v46 offset:16464
	s_add_u32 s50, s50, 32
	s_waitcnt lgkmcnt(2)
	v_fmac_f64_e32 v[56:57], v[10:11], v[48:49]
	v_fmac_f64_e32 v[28:29], v[12:13], v[48:49]
	v_fma_f64 v[56:57], -v[12:13], v[50:51], v[56:57]
	v_fmac_f64_e32 v[28:29], v[10:11], v[50:51]
	ds_read_b128 v[10:13], v20 offset:3072
	ds_read_b128 v[48:51], v46 offset:16480
	s_waitcnt lgkmcnt(2)
	v_fmac_f64_e32 v[56:57], v[42:43], v[52:53]
	v_fmac_f64_e32 v[28:29], v[44:45], v[52:53]
	v_fma_f64 v[56:57], -v[44:45], v[54:55], v[56:57]
	v_fmac_f64_e32 v[28:29], v[42:43], v[54:55]
	ds_read_b128 v[42:45], v20 offset:3584
	ds_read_b128 v[52:55], v46 offset:16496
	;; [unrolled: 7-line block ×26, first 2 shown]
	s_waitcnt lgkmcnt(2)
	v_fmac_f64_e32 v[60:61], v[10:11], v[48:49]
	v_fmac_f64_e32 v[28:29], v[12:13], v[48:49]
	v_fma_f64 v[42:43], -v[12:13], v[50:51], v[60:61]
	v_fmac_f64_e32 v[28:29], v[10:11], v[50:51]
	s_addc_u32 s51, s51, 0
	v_mov_b64_e32 v[10:11], s[28:29]
	s_waitcnt lgkmcnt(0)
	v_fmac_f64_e32 v[42:43], v[52:53], v[56:57]
	v_fmac_f64_e32 v[28:29], v[54:55], v[56:57]
	v_cmp_ge_i64_e32 vcc, s[50:51], v[10:11]
	v_fma_f64 v[42:43], -v[54:55], v[58:59], v[42:43]
	v_fmac_f64_e32 v[28:29], v[52:53], v[58:59]
	v_lshl_add_u64 v[38:39], v[38:39], 0, s[44:45]
	v_lshl_add_u64 v[40:41], v[40:41], 0, s[44:45]
	s_barrier
	s_cbranch_vccnz .LBB11_12
.LBB11_15:                              ;   Parent Loop BB11_10 Depth=1
                                        ;     Parent Loop BB11_13 Depth=2
                                        ; =>    This Inner Loop Header: Depth=3
	s_mov_b64 s[52:53], -1
	s_and_b64 vcc, exec, s[6:7]
	s_mov_b64 s[54:55], 0
                                        ; implicit-def: $vgpr44_vgpr45
	s_cbranch_vccnz .LBB11_25
; %bb.16:                               ;   in Loop: Header=BB11_15 Depth=3
	s_and_b64 vcc, exec, s[52:53]
	s_cbranch_vccnz .LBB11_30
.LBB11_17:                              ;   in Loop: Header=BB11_15 Depth=3
	v_mov_b64_e32 v[10:11], 0
	v_mov_b64_e32 v[12:13], 0
	s_and_saveexec_b64 s[52:53], s[54:55]
	s_cbranch_execnz .LBB11_33
.LBB11_18:                              ;   in Loop: Header=BB11_15 Depth=3
	s_or_b64 exec, exec, s[52:53]
	s_and_b64 vcc, exec, s[26:27]
	ds_write_b128 v21, v[10:13]
	s_cbranch_vccz .LBB11_34
.LBB11_19:                              ;   in Loop: Header=BB11_15 Depth=3
	s_mov_b64 s[54:55], 0
	s_mov_b64 s[52:53], 0
                                        ; implicit-def: $vgpr44_vgpr45
	s_and_saveexec_b64 s[56:57], s[4:5]
	s_cbranch_execz .LBB11_23
; %bb.20:                               ;   in Loop: Header=BB11_15 Depth=3
	v_lshl_add_u64 v[10:11], s[50:51], 0, v[14:15]
	v_cmp_gt_i64_e32 vcc, s[28:29], v[10:11]
                                        ; implicit-def: $vgpr44_vgpr45
	s_and_saveexec_b64 s[58:59], vcc
	s_xor_b64 s[58:59], exec, s[58:59]
; %bb.21:                               ;   in Loop: Header=BB11_15 Depth=3
	v_mul_lo_u32 v12, v11, s28
	v_mul_lo_u32 v13, v10, s29
	v_mad_u64_u32 v[10:11], s[60:61], v10, s28, 0
	v_add3_u32 v11, v11, v13, v12
	s_mov_b64 s[52:53], exec
	v_lshl_add_u64 v[44:45], v[10:11], 4, v[36:37]
; %bb.22:                               ;   in Loop: Header=BB11_15 Depth=3
	s_or_b64 exec, exec, s[58:59]
	s_and_b64 s[52:53], s[52:53], exec
.LBB11_23:                              ;   in Loop: Header=BB11_15 Depth=3
	s_or_b64 exec, exec, s[56:57]
	s_and_b64 vcc, exec, s[54:55]
	s_cbranch_vccnz .LBB11_35
.LBB11_24:                              ;   in Loop: Header=BB11_15 Depth=3
	v_mov_b64_e32 v[10:11], 0
	v_mov_b64_e32 v[12:13], 0
	s_and_saveexec_b64 s[54:55], s[52:53]
	s_cbranch_execz .LBB11_14
	s_branch .LBB11_38
.LBB11_25:                              ;   in Loop: Header=BB11_15 Depth=3
	s_mov_b64 s[52:53], 0
                                        ; implicit-def: $vgpr44_vgpr45
	s_and_saveexec_b64 s[56:57], s[0:1]
	s_cbranch_execz .LBB11_29
; %bb.26:                               ;   in Loop: Header=BB11_15 Depth=3
	v_lshl_add_u64 v[10:11], s[50:51], 0, v[0:1]
	v_cmp_gt_i64_e32 vcc, s[28:29], v[10:11]
                                        ; implicit-def: $vgpr44_vgpr45
	s_and_saveexec_b64 s[58:59], vcc
	s_xor_b64 s[58:59], exec, s[58:59]
; %bb.27:                               ;   in Loop: Header=BB11_15 Depth=3
	v_lshl_add_u64 v[10:11], v[10:11], 0, s[48:49]
	v_mul_lo_u32 v12, v11, s14
	v_mul_lo_u32 v13, v10, s15
	v_mad_u64_u32 v[10:11], s[60:61], v10, s14, 0
	v_add3_u32 v11, v11, v13, v12
	s_mov_b64 s[54:55], exec
	v_lshl_add_u64 v[44:45], v[10:11], 4, v[18:19]
; %bb.28:                               ;   in Loop: Header=BB11_15 Depth=3
	s_or_b64 exec, exec, s[58:59]
	s_and_b64 s[54:55], s[54:55], exec
.LBB11_29:                              ;   in Loop: Header=BB11_15 Depth=3
	s_or_b64 exec, exec, s[56:57]
	s_and_b64 vcc, exec, s[52:53]
	s_cbranch_vccz .LBB11_17
.LBB11_30:                              ;   in Loop: Header=BB11_15 Depth=3
	s_and_saveexec_b64 s[52:53], s[0:1]
; %bb.31:                               ;   in Loop: Header=BB11_15 Depth=3
	v_lshl_add_u64 v[10:11], v[0:1], 0, s[50:51]
	v_cmp_gt_i64_e32 vcc, s[28:29], v[10:11]
	s_andn2_b64 s[54:55], s[54:55], exec
	s_and_b64 s[56:57], vcc, exec
	s_or_b64 s[54:55], s[54:55], s[56:57]
; %bb.32:                               ;   in Loop: Header=BB11_15 Depth=3
	s_or_b64 exec, exec, s[52:53]
	v_mov_b64_e32 v[44:45], v[38:39]
	v_mov_b64_e32 v[10:11], 0
	;; [unrolled: 1-line block ×3, first 2 shown]
	s_and_saveexec_b64 s[52:53], s[54:55]
	s_cbranch_execz .LBB11_18
.LBB11_33:                              ;   in Loop: Header=BB11_15 Depth=3
	global_load_dwordx4 v[10:13], v[44:45], off
	s_or_b64 exec, exec, s[52:53]
	s_and_b64 vcc, exec, s[26:27]
	s_waitcnt vmcnt(0)
	ds_write_b128 v21, v[10:13]
	s_cbranch_vccnz .LBB11_19
.LBB11_34:                              ;   in Loop: Header=BB11_15 Depth=3
	s_mov_b64 s[52:53], 0
                                        ; implicit-def: $vgpr44_vgpr45
	s_cbranch_execz .LBB11_24
.LBB11_35:                              ;   in Loop: Header=BB11_15 Depth=3
	s_and_saveexec_b64 s[54:55], s[4:5]
; %bb.36:                               ;   in Loop: Header=BB11_15 Depth=3
	v_lshl_add_u64 v[10:11], v[14:15], 0, s[50:51]
	v_cmp_gt_i64_e32 vcc, s[28:29], v[10:11]
	s_andn2_b64 s[52:53], s[52:53], exec
	s_and_b64 s[56:57], vcc, exec
	s_or_b64 s[52:53], s[52:53], s[56:57]
; %bb.37:                               ;   in Loop: Header=BB11_15 Depth=3
	s_or_b64 exec, exec, s[54:55]
	v_mov_b64_e32 v[44:45], v[40:41]
	v_mov_b64_e32 v[10:11], 0
	;; [unrolled: 1-line block ×3, first 2 shown]
	s_and_saveexec_b64 s[54:55], s[52:53]
	s_cbranch_execz .LBB11_14
.LBB11_38:                              ;   in Loop: Header=BB11_15 Depth=3
	global_load_dwordx4 v[10:13], v[44:45], off
	s_branch .LBB11_14
.LBB11_39:                              ;   in Loop: Header=BB11_10 Depth=1
	v_cmp_gt_i64_e32 vcc, s[28:29], v[30:31]
	s_and_b64 s[46:47], s[36:37], vcc
	s_and_saveexec_b64 s[4:5], s[46:47]
	s_cbranch_execz .LBB11_9
; %bb.40:                               ;   in Loop: Header=BB11_10 Depth=1
	v_lshl_add_u64 v[30:31], v[30:31], 0, s[30:31]
	s_and_saveexec_b64 s[46:47], s[40:41]
	s_xor_b64 s[46:47], exec, s[46:47]
	s_cbranch_execz .LBB11_45
; %bb.41:                               ;   in Loop: Header=BB11_10 Depth=1
	s_mov_b64 s[48:49], -1
	s_and_b64 vcc, exec, s[20:21]
	s_cbranch_vccz .LBB11_43
; %bb.42:                               ;   in Loop: Header=BB11_10 Depth=1
	v_mul_lo_u32 v12, v31, s10
	v_mul_lo_u32 v13, v30, s11
	v_mad_u64_u32 v[10:11], s[48:49], v30, s10, 0
	v_add3_u32 v11, v11, v13, v12
	v_lshl_add_u64 v[36:37], v[10:11], 4, v[16:17]
	global_load_dwordx4 v[10:13], v[36:37], off
	v_mul_f64 v[32:33], v[28:29], -v[4:5]
	v_mul_f64 v[34:35], v[2:3], v[28:29]
	v_fmac_f64_e32 v[32:33], v[2:3], v[42:43]
	v_fmac_f64_e32 v[34:35], v[4:5], v[42:43]
	s_mov_b64 s[48:49], 0
	s_waitcnt vmcnt(0)
	v_fmac_f64_e32 v[32:33], v[6:7], v[10:11]
	v_fmac_f64_e32 v[34:35], v[8:9], v[10:11]
	v_fma_f64 v[32:33], -v[8:9], v[12:13], v[32:33]
	v_fmac_f64_e32 v[34:35], v[6:7], v[12:13]
	global_store_dwordx4 v[36:37], v[32:35], off
.LBB11_43:                              ;   in Loop: Header=BB11_10 Depth=1
	s_andn2_b64 vcc, exec, s[48:49]
	s_cbranch_vccnz .LBB11_45
; %bb.44:                               ;   in Loop: Header=BB11_10 Depth=1
	v_lshl_add_u64 v[32:33], v[30:31], 4, v[22:23]
	global_load_dwordx4 v[10:13], v[32:33], off
	v_mul_f64 v[34:35], v[28:29], -v[4:5]
	v_mul_f64 v[30:31], v[2:3], v[28:29]
	v_fmac_f64_e32 v[34:35], v[2:3], v[42:43]
	v_fmac_f64_e32 v[30:31], v[4:5], v[42:43]
                                        ; implicit-def: $vgpr42_vgpr43
	s_waitcnt vmcnt(0)
	v_fmac_f64_e32 v[34:35], v[6:7], v[10:11]
	v_fmac_f64_e32 v[30:31], v[8:9], v[10:11]
	v_fma_f64 v[28:29], -v[8:9], v[12:13], v[34:35]
	v_fmac_f64_e32 v[30:31], v[6:7], v[12:13]
	global_store_dwordx4 v[32:33], v[28:31], off
                                        ; implicit-def: $vgpr30_vgpr31
                                        ; implicit-def: $vgpr28_vgpr29
.LBB11_45:                              ;   in Loop: Header=BB11_10 Depth=1
	s_andn2_saveexec_b64 s[46:47], s[46:47]
	s_cbranch_execz .LBB11_9
; %bb.46:                               ;   in Loop: Header=BB11_10 Depth=1
	v_mul_f64 v[10:11], v[28:29], -v[4:5]
	v_mul_f64 v[12:13], v[2:3], v[28:29]
	v_fmac_f64_e32 v[10:11], v[2:3], v[42:43]
	v_fmac_f64_e32 v[12:13], v[4:5], v[42:43]
	s_mov_b64 s[46:47], -1
	s_and_b64 vcc, exec, s[20:21]
	s_cbranch_vccz .LBB11_48
; %bb.47:                               ;   in Loop: Header=BB11_10 Depth=1
	v_mul_lo_u32 v32, v31, s10
	v_mul_lo_u32 v33, v30, s11
	v_mad_u64_u32 v[28:29], s[46:47], v30, s10, 0
	v_add3_u32 v29, v29, v33, v32
	v_lshl_add_u64 v[28:29], v[28:29], 4, v[16:17]
	global_store_dwordx4 v[28:29], v[10:13], off
	s_mov_b64 s[46:47], 0
.LBB11_48:                              ;   in Loop: Header=BB11_10 Depth=1
	s_andn2_b64 vcc, exec, s[46:47]
	s_cbranch_vccnz .LBB11_9
; %bb.49:                               ;   in Loop: Header=BB11_10 Depth=1
	v_lshl_add_u64 v[28:29], v[30:31], 4, v[22:23]
	global_store_dwordx4 v[28:29], v[10:13], off
	s_branch .LBB11_9
.LBB11_50:
	s_endpgm
	.section	.rodata,"a",@progbits
	.p2align	6, 0x0
	.amdhsa_kernel _ZN9rocsparseL29bsrmm_general_blockdim_kernelILj32ELj32Ell21rocsparse_complex_numIdES2_S2_S2_EEvb20rocsparse_direction_T2_S4_llNS_24const_host_device_scalarIT6_EEPKT1_PKS4_PKT3_S4_PKT4_llS7_PT5_ll16rocsparse_order_21rocsparse_index_base_b
		.amdhsa_group_segment_fixed_size 32768
		.amdhsa_private_segment_fixed_size 0
		.amdhsa_kernarg_size 164
		.amdhsa_user_sgpr_count 2
		.amdhsa_user_sgpr_dispatch_ptr 0
		.amdhsa_user_sgpr_queue_ptr 0
		.amdhsa_user_sgpr_kernarg_segment_ptr 1
		.amdhsa_user_sgpr_dispatch_id 0
		.amdhsa_user_sgpr_kernarg_preload_length 0
		.amdhsa_user_sgpr_kernarg_preload_offset 0
		.amdhsa_user_sgpr_private_segment_size 0
		.amdhsa_uses_dynamic_stack 0
		.amdhsa_enable_private_segment 0
		.amdhsa_system_sgpr_workgroup_id_x 1
		.amdhsa_system_sgpr_workgroup_id_y 1
		.amdhsa_system_sgpr_workgroup_id_z 0
		.amdhsa_system_sgpr_workgroup_info 0
		.amdhsa_system_vgpr_workitem_id 1
		.amdhsa_next_free_vgpr 68
		.amdhsa_next_free_sgpr 62
		.amdhsa_accum_offset 68
		.amdhsa_reserve_vcc 1
		.amdhsa_float_round_mode_32 0
		.amdhsa_float_round_mode_16_64 0
		.amdhsa_float_denorm_mode_32 3
		.amdhsa_float_denorm_mode_16_64 3
		.amdhsa_dx10_clamp 1
		.amdhsa_ieee_mode 1
		.amdhsa_fp16_overflow 0
		.amdhsa_tg_split 0
		.amdhsa_exception_fp_ieee_invalid_op 0
		.amdhsa_exception_fp_denorm_src 0
		.amdhsa_exception_fp_ieee_div_zero 0
		.amdhsa_exception_fp_ieee_overflow 0
		.amdhsa_exception_fp_ieee_underflow 0
		.amdhsa_exception_fp_ieee_inexact 0
		.amdhsa_exception_int_div_zero 0
	.end_amdhsa_kernel
	.section	.text._ZN9rocsparseL29bsrmm_general_blockdim_kernelILj32ELj32Ell21rocsparse_complex_numIdES2_S2_S2_EEvb20rocsparse_direction_T2_S4_llNS_24const_host_device_scalarIT6_EEPKT1_PKS4_PKT3_S4_PKT4_llS7_PT5_ll16rocsparse_order_21rocsparse_index_base_b,"axG",@progbits,_ZN9rocsparseL29bsrmm_general_blockdim_kernelILj32ELj32Ell21rocsparse_complex_numIdES2_S2_S2_EEvb20rocsparse_direction_T2_S4_llNS_24const_host_device_scalarIT6_EEPKT1_PKS4_PKT3_S4_PKT4_llS7_PT5_ll16rocsparse_order_21rocsparse_index_base_b,comdat
.Lfunc_end11:
	.size	_ZN9rocsparseL29bsrmm_general_blockdim_kernelILj32ELj32Ell21rocsparse_complex_numIdES2_S2_S2_EEvb20rocsparse_direction_T2_S4_llNS_24const_host_device_scalarIT6_EEPKT1_PKS4_PKT3_S4_PKT4_llS7_PT5_ll16rocsparse_order_21rocsparse_index_base_b, .Lfunc_end11-_ZN9rocsparseL29bsrmm_general_blockdim_kernelILj32ELj32Ell21rocsparse_complex_numIdES2_S2_S2_EEvb20rocsparse_direction_T2_S4_llNS_24const_host_device_scalarIT6_EEPKT1_PKS4_PKT3_S4_PKT4_llS7_PT5_ll16rocsparse_order_21rocsparse_index_base_b
                                        ; -- End function
	.set _ZN9rocsparseL29bsrmm_general_blockdim_kernelILj32ELj32Ell21rocsparse_complex_numIdES2_S2_S2_EEvb20rocsparse_direction_T2_S4_llNS_24const_host_device_scalarIT6_EEPKT1_PKS4_PKT3_S4_PKT4_llS7_PT5_ll16rocsparse_order_21rocsparse_index_base_b.num_vgpr, 68
	.set _ZN9rocsparseL29bsrmm_general_blockdim_kernelILj32ELj32Ell21rocsparse_complex_numIdES2_S2_S2_EEvb20rocsparse_direction_T2_S4_llNS_24const_host_device_scalarIT6_EEPKT1_PKS4_PKT3_S4_PKT4_llS7_PT5_ll16rocsparse_order_21rocsparse_index_base_b.num_agpr, 0
	.set _ZN9rocsparseL29bsrmm_general_blockdim_kernelILj32ELj32Ell21rocsparse_complex_numIdES2_S2_S2_EEvb20rocsparse_direction_T2_S4_llNS_24const_host_device_scalarIT6_EEPKT1_PKS4_PKT3_S4_PKT4_llS7_PT5_ll16rocsparse_order_21rocsparse_index_base_b.numbered_sgpr, 62
	.set _ZN9rocsparseL29bsrmm_general_blockdim_kernelILj32ELj32Ell21rocsparse_complex_numIdES2_S2_S2_EEvb20rocsparse_direction_T2_S4_llNS_24const_host_device_scalarIT6_EEPKT1_PKS4_PKT3_S4_PKT4_llS7_PT5_ll16rocsparse_order_21rocsparse_index_base_b.num_named_barrier, 0
	.set _ZN9rocsparseL29bsrmm_general_blockdim_kernelILj32ELj32Ell21rocsparse_complex_numIdES2_S2_S2_EEvb20rocsparse_direction_T2_S4_llNS_24const_host_device_scalarIT6_EEPKT1_PKS4_PKT3_S4_PKT4_llS7_PT5_ll16rocsparse_order_21rocsparse_index_base_b.private_seg_size, 0
	.set _ZN9rocsparseL29bsrmm_general_blockdim_kernelILj32ELj32Ell21rocsparse_complex_numIdES2_S2_S2_EEvb20rocsparse_direction_T2_S4_llNS_24const_host_device_scalarIT6_EEPKT1_PKS4_PKT3_S4_PKT4_llS7_PT5_ll16rocsparse_order_21rocsparse_index_base_b.uses_vcc, 1
	.set _ZN9rocsparseL29bsrmm_general_blockdim_kernelILj32ELj32Ell21rocsparse_complex_numIdES2_S2_S2_EEvb20rocsparse_direction_T2_S4_llNS_24const_host_device_scalarIT6_EEPKT1_PKS4_PKT3_S4_PKT4_llS7_PT5_ll16rocsparse_order_21rocsparse_index_base_b.uses_flat_scratch, 0
	.set _ZN9rocsparseL29bsrmm_general_blockdim_kernelILj32ELj32Ell21rocsparse_complex_numIdES2_S2_S2_EEvb20rocsparse_direction_T2_S4_llNS_24const_host_device_scalarIT6_EEPKT1_PKS4_PKT3_S4_PKT4_llS7_PT5_ll16rocsparse_order_21rocsparse_index_base_b.has_dyn_sized_stack, 0
	.set _ZN9rocsparseL29bsrmm_general_blockdim_kernelILj32ELj32Ell21rocsparse_complex_numIdES2_S2_S2_EEvb20rocsparse_direction_T2_S4_llNS_24const_host_device_scalarIT6_EEPKT1_PKS4_PKT3_S4_PKT4_llS7_PT5_ll16rocsparse_order_21rocsparse_index_base_b.has_recursion, 0
	.set _ZN9rocsparseL29bsrmm_general_blockdim_kernelILj32ELj32Ell21rocsparse_complex_numIdES2_S2_S2_EEvb20rocsparse_direction_T2_S4_llNS_24const_host_device_scalarIT6_EEPKT1_PKS4_PKT3_S4_PKT4_llS7_PT5_ll16rocsparse_order_21rocsparse_index_base_b.has_indirect_call, 0
	.section	.AMDGPU.csdata,"",@progbits
; Kernel info:
; codeLenInByte = 3172
; TotalNumSgprs: 68
; NumVgprs: 68
; NumAgprs: 0
; TotalNumVgprs: 68
; ScratchSize: 0
; MemoryBound: 1
; FloatMode: 240
; IeeeMode: 1
; LDSByteSize: 32768 bytes/workgroup (compile time only)
; SGPRBlocks: 8
; VGPRBlocks: 8
; NumSGPRsForWavesPerEU: 68
; NumVGPRsForWavesPerEU: 68
; AccumOffset: 68
; Occupancy: 7
; WaveLimiterHint : 1
; COMPUTE_PGM_RSRC2:SCRATCH_EN: 0
; COMPUTE_PGM_RSRC2:USER_SGPR: 2
; COMPUTE_PGM_RSRC2:TRAP_HANDLER: 0
; COMPUTE_PGM_RSRC2:TGID_X_EN: 1
; COMPUTE_PGM_RSRC2:TGID_Y_EN: 1
; COMPUTE_PGM_RSRC2:TGID_Z_EN: 0
; COMPUTE_PGM_RSRC2:TIDIG_COMP_CNT: 1
; COMPUTE_PGM_RSRC3_GFX90A:ACCUM_OFFSET: 16
; COMPUTE_PGM_RSRC3_GFX90A:TG_SPLIT: 0
	.section	.text._ZN9rocsparseL29bsrmm_general_blockdim_kernelILj32ELj32EiiDF16_DF16_ffEEvb20rocsparse_direction_T2_S2_llNS_24const_host_device_scalarIT6_EEPKT1_PKS2_PKT3_S2_PKT4_llS5_PT5_ll16rocsparse_order_21rocsparse_index_base_b,"axG",@progbits,_ZN9rocsparseL29bsrmm_general_blockdim_kernelILj32ELj32EiiDF16_DF16_ffEEvb20rocsparse_direction_T2_S2_llNS_24const_host_device_scalarIT6_EEPKT1_PKS2_PKT3_S2_PKT4_llS5_PT5_ll16rocsparse_order_21rocsparse_index_base_b,comdat
	.globl	_ZN9rocsparseL29bsrmm_general_blockdim_kernelILj32ELj32EiiDF16_DF16_ffEEvb20rocsparse_direction_T2_S2_llNS_24const_host_device_scalarIT6_EEPKT1_PKS2_PKT3_S2_PKT4_llS5_PT5_ll16rocsparse_order_21rocsparse_index_base_b ; -- Begin function _ZN9rocsparseL29bsrmm_general_blockdim_kernelILj32ELj32EiiDF16_DF16_ffEEvb20rocsparse_direction_T2_S2_llNS_24const_host_device_scalarIT6_EEPKT1_PKS2_PKT3_S2_PKT4_llS5_PT5_ll16rocsparse_order_21rocsparse_index_base_b
	.p2align	8
	.type	_ZN9rocsparseL29bsrmm_general_blockdim_kernelILj32ELj32EiiDF16_DF16_ffEEvb20rocsparse_direction_T2_S2_llNS_24const_host_device_scalarIT6_EEPKT1_PKS2_PKT3_S2_PKT4_llS5_PT5_ll16rocsparse_order_21rocsparse_index_base_b,@function
_ZN9rocsparseL29bsrmm_general_blockdim_kernelILj32ELj32EiiDF16_DF16_ffEEvb20rocsparse_direction_T2_S2_llNS_24const_host_device_scalarIT6_EEPKT1_PKS2_PKT3_S2_PKT4_llS5_PT5_ll16rocsparse_order_21rocsparse_index_base_b: ; @_ZN9rocsparseL29bsrmm_general_blockdim_kernelILj32ELj32EiiDF16_DF16_ffEEvb20rocsparse_direction_T2_S2_llNS_24const_host_device_scalarIT6_EEPKT1_PKS2_PKT3_S2_PKT4_llS5_PT5_ll16rocsparse_order_21rocsparse_index_base_b
; %bb.0:
	s_load_dwordx4 s[8:11], s[0:1], 0x80
	s_mov_b32 s4, s3
	s_waitcnt lgkmcnt(0)
	s_bitcmp1_b32 s10, 0
	s_load_dwordx2 s[6:7], s[0:1], 0x20
	s_load_dwordx2 s[10:11], s[0:1], 0x60
	s_cselect_b64 s[14:15], -1, 0
	s_xor_b64 s[12:13], s[14:15], -1
	s_and_b64 vcc, exec, s[14:15]
	s_cbranch_vccnz .LBB12_2
; %bb.1:
	s_waitcnt lgkmcnt(0)
	s_load_dword s6, s[6:7], 0x0
.LBB12_2:
	s_andn2_b64 vcc, exec, s[12:13]
	s_cbranch_vccnz .LBB12_4
; %bb.3:
	s_waitcnt lgkmcnt(0)
	s_load_dword s10, s[10:11], 0x0
.LBB12_4:
	s_waitcnt lgkmcnt(0)
	v_cmp_eq_f32_e64 s[12:13], s6, 0
	v_cmp_eq_f32_e64 s[14:15], s10, 1.0
	s_and_b64 s[12:13], s[12:13], s[14:15]
	s_mov_b32 s7, 0
	s_and_b64 vcc, exec, s[12:13]
	s_cbranch_vccnz .LBB12_55
; %bb.5:
	s_load_dwordx4 s[24:27], s[0:1], 0x0
	s_load_dwordx2 s[12:13], s[0:1], 0x28
	s_waitcnt lgkmcnt(0)
	s_cmp_lt_i32 s2, s26
	s_cselect_b64 s[30:31], -1, 0
	s_cmp_ge_i32 s2, s26
	s_cbranch_scc0 .LBB12_8
; %bb.6:
	s_andn2_b64 vcc, exec, s[30:31]
	s_mov_b32 s11, 0
	s_cbranch_vccz .LBB12_9
.LBB12_7:
	s_load_dword s33, s[0:1], 0x40
	s_waitcnt lgkmcnt(0)
	s_cmp_lt_i32 s33, 1
	s_cbranch_scc0 .LBB12_10
	s_branch .LBB12_55
.LBB12_8:
	s_ashr_i32 s3, s2, 31
	s_lshl_b64 s[14:15], s[2:3], 2
	s_add_u32 s14, s12, s14
	s_addc_u32 s15, s13, s15
	s_load_dword s3, s[14:15], 0x0
	s_waitcnt lgkmcnt(0)
	s_sub_i32 s7, s3, s9
	s_andn2_b64 vcc, exec, s[30:31]
	s_mov_b32 s11, 0
	s_cbranch_vccnz .LBB12_7
.LBB12_9:
	s_ashr_i32 s3, s2, 31
	s_lshl_b64 s[14:15], s[2:3], 2
	s_add_u32 s12, s12, s14
	s_addc_u32 s13, s13, s15
	s_load_dword s3, s[12:13], 0x4
	s_waitcnt lgkmcnt(0)
	s_sub_i32 s11, s3, s9
	s_load_dword s33, s[0:1], 0x40
	s_waitcnt lgkmcnt(0)
	s_cmp_lt_i32 s33, 1
	s_cbranch_scc1 .LBB12_55
.LBB12_10:
	s_load_dwordx4 s[12:15], s[0:1], 0x68
	s_load_dwordx4 s[16:19], s[0:1], 0x30
	;; [unrolled: 1-line block ×3, first 2 shown]
	v_and_b32_e32 v1, 0x3ff, v0
	v_bfe_u32 v0, v0, 10, 10
	v_lshl_add_u32 v8, s4, 5, v0
	s_bitcmp1_b32 s24, 0
	v_ashrrev_i32_e32 v9, 31, v8
	s_cselect_b64 s[0:1], -1, 0
	s_waitcnt lgkmcnt(0)
	v_mul_lo_u32 v6, s22, v9
	v_mul_lo_u32 v7, s23, v8
	v_mad_u64_u32 v[4:5], s[4:5], s22, v8, 0
	s_xor_b64 s[28:29], s[0:1], -1
	v_cmp_gt_i32_e64 s[0:1], s27, v8
	v_lshl_add_u64 v[2:3], v[8:9], 1, s[20:21]
	v_add3_u32 v5, v5, v6, v7
	v_lshl_add_u64 v[6:7], v[8:9], 2, s[12:13]
	v_mul_lo_u32 v10, s14, v9
	v_mul_lo_u32 v11, s15, v8
	v_mad_u64_u32 v[8:9], s[4:5], s14, v8, 0
	s_cmp_lt_i32 s7, s11
	s_mul_i32 s4, s7, s33
	s_mul_i32 s42, s33, s2
	s_cselect_b64 s[2:3], -1, 0
	s_cmp_lg_u32 s25, 0
	v_add3_u32 v9, v9, v10, v11
	v_add_u32_e32 v10, s4, v1
	v_lshlrev_b32_e32 v16, 2, v1
	v_lshl_add_u64 v[4:5], v[4:5], 1, s[20:21]
	s_cselect_b64 s[20:21], -1, 0
	s_and_b64 s[24:25], s[30:31], s[0:1]
	v_mad_u64_u32 v[10:11], s[4:5], s33, v10, v[0:1]
	v_or_b32_e32 v12, 0x1000, v16
	v_lshlrev_b32_e32 v17, 7, v0
	s_cmp_lg_u32 s8, 1
	v_cndmask_b32_e64 v11, 0, 1, s[2:3]
	s_mov_b32 s43, 0
	v_cmp_neq_f32_e64 s[26:27], s10, 0
	s_cselect_b64 s[30:31], -1, 0
	v_lshl_add_u64 v[8:9], v[8:9], 2, s[12:13]
	s_lshl_b32 s8, s33, 5
	s_mul_i32 s44, s33, s33
	v_cmp_ne_u32_e64 s[2:3], 1, v11
	v_add_u32_e32 v11, v12, v17
	v_add_u32_e32 v18, v16, v17
	;; [unrolled: 1-line block ×5, first 2 shown]
	s_branch .LBB12_12
.LBB12_11:                              ;   in Loop: Header=BB12_12 Depth=1
	s_or_b64 exec, exec, s[4:5]
	s_add_i32 s43, s43, 32
	s_cmp_lt_i32 s43, s33
	v_add_u32_e32 v10, s8, v10
	s_cbranch_scc0 .LBB12_55
.LBB12_12:                              ; =>This Loop Header: Depth=1
                                        ;     Child Loop BB12_15 Depth 2
                                        ;       Child Loop BB12_17 Depth 3
	v_add_u32_e32 v12, s43, v1
	v_mov_b32_e32 v22, 0
	s_and_b64 vcc, exec, s[2:3]
	v_cmp_gt_i32_e64 s[4:5], s33, v12
	s_cbranch_vccnz .LBB12_43
; %bb.13:                               ;   in Loop: Header=BB12_12 Depth=1
	v_mov_b32_e32 v22, 0
	v_mov_b32_e32 v13, v10
	s_mov_b32 s12, s7
	s_branch .LBB12_15
.LBB12_14:                              ;   in Loop: Header=BB12_15 Depth=2
	s_add_i32 s12, s12, 1
	s_cmp_ge_i32 s12, s11
	v_add_u32_e32 v13, s44, v13
	s_cbranch_scc1 .LBB12_43
.LBB12_15:                              ;   Parent Loop BB12_12 Depth=1
                                        ; =>  This Loop Header: Depth=2
                                        ;       Child Loop BB12_17 Depth 3
	s_ashr_i32 s13, s12, 31
	s_lshl_b64 s[34:35], s[12:13], 2
	s_add_u32 s34, s16, s34
	s_addc_u32 s35, s17, s35
	s_load_dword s34, s[34:35], 0x0
	s_mul_i32 s13, s12, s33
	s_mov_b32 s45, 0
	s_waitcnt lgkmcnt(0)
	s_sub_i32 s34, s34, s9
	s_mul_i32 s34, s34, s33
	v_add_u32_e32 v23, s34, v1
	s_branch .LBB12_17
.LBB12_16:                              ;   in Loop: Header=BB12_17 Depth=3
	s_or_b64 exec, exec, s[36:37]
	ds_write_b32 v18, v15
	s_waitcnt lgkmcnt(0)
	s_barrier
	ds_read2_b32 v[14:15], v16 offset1:32
	ds_read_b128 v[24:27], v17 offset:4096
	ds_read_b128 v[28:31], v17 offset:4112
	ds_read2_b32 v[40:41], v16 offset0:64 offset1:96
	ds_read_b128 v[32:35], v17 offset:4128
	ds_read_b128 v[36:39], v17 offset:4144
	ds_read2_b32 v[42:43], v16 offset0:128 offset1:160
	s_waitcnt lgkmcnt(5)
	v_fmac_f32_e32 v22, v14, v24
	v_fmac_f32_e32 v22, v15, v25
	ds_read2_b32 v[14:15], v16 offset0:192 offset1:224
	s_waitcnt lgkmcnt(4)
	v_fmac_f32_e32 v22, v40, v26
	v_fmac_f32_e32 v22, v41, v27
	ds_read2_b32 v[24:25], v19 offset1:32
	s_waitcnt lgkmcnt(2)
	v_fmac_f32_e32 v22, v42, v28
	v_fmac_f32_e32 v22, v43, v29
	ds_read2_b32 v[26:27], v19 offset0:64 offset1:96
	s_waitcnt lgkmcnt(2)
	v_fmac_f32_e32 v22, v14, v30
	v_fmac_f32_e32 v22, v15, v31
	ds_read2_b32 v[14:15], v19 offset0:128 offset1:160
	s_waitcnt lgkmcnt(2)
	v_fmac_f32_e32 v22, v24, v32
	v_fmac_f32_e32 v22, v25, v33
	s_waitcnt lgkmcnt(1)
	v_fmac_f32_e32 v22, v26, v34
	ds_read2_b32 v[28:29], v19 offset0:192 offset1:224
	v_fmac_f32_e32 v22, v27, v35
	s_waitcnt lgkmcnt(1)
	v_fmac_f32_e32 v22, v14, v36
	v_fmac_f32_e32 v22, v15, v37
	ds_read2_b32 v[14:15], v20 offset1:32
	ds_read_b128 v[24:27], v17 offset:4160
	s_waitcnt lgkmcnt(2)
	v_fmac_f32_e32 v22, v28, v38
	v_fmac_f32_e32 v22, v29, v39
	ds_read2_b32 v[32:33], v20 offset0:64 offset1:96
	ds_read_b128 v[28:31], v17 offset:4176
	ds_read2_b32 v[34:35], v20 offset0:128 offset1:160
	s_waitcnt lgkmcnt(3)
	v_fmac_f32_e32 v22, v14, v24
	v_fmac_f32_e32 v22, v15, v25
	ds_read2_b32 v[14:15], v20 offset0:192 offset1:224
	s_waitcnt lgkmcnt(3)
	v_fmac_f32_e32 v22, v32, v26
	v_fmac_f32_e32 v22, v33, v27
	s_waitcnt lgkmcnt(1)
	v_fmac_f32_e32 v22, v34, v28
	ds_read2_b32 v[32:33], v21 offset1:32
	ds_read_b128 v[24:27], v17 offset:4192
	v_fmac_f32_e32 v22, v35, v29
	s_waitcnt lgkmcnt(2)
	v_fmac_f32_e32 v22, v14, v30
	v_fmac_f32_e32 v22, v15, v31
	ds_read2_b32 v[14:15], v21 offset0:64 offset1:96
	ds_read_b128 v[28:31], v17 offset:4208
	ds_read2_b32 v[34:35], v21 offset0:128 offset1:160
	s_waitcnt lgkmcnt(3)
	v_fmac_f32_e32 v22, v32, v24
	v_fmac_f32_e32 v22, v33, v25
	ds_read2_b32 v[24:25], v21 offset0:192 offset1:224
	s_waitcnt lgkmcnt(3)
	v_fmac_f32_e32 v22, v14, v26
	v_fmac_f32_e32 v22, v15, v27
	s_waitcnt lgkmcnt(1)
	v_fmac_f32_e32 v22, v34, v28
	v_fmac_f32_e32 v22, v35, v29
	s_waitcnt lgkmcnt(0)
	v_fmac_f32_e32 v22, v24, v30
	s_add_i32 s45, s45, 32
	v_fmac_f32_e32 v22, v25, v31
	s_cmp_ge_i32 s45, s33
	s_barrier
	s_cbranch_scc1 .LBB12_14
.LBB12_17:                              ;   Parent Loop BB12_12 Depth=1
                                        ;     Parent Loop BB12_15 Depth=2
                                        ; =>    This Inner Loop Header: Depth=3
	s_mov_b64 s[34:35], -1
	s_and_b64 vcc, exec, s[28:29]
                                        ; implicit-def: $vgpr14
	s_cbranch_vccnz .LBB12_26
; %bb.18:                               ;   in Loop: Header=BB12_17 Depth=3
	s_andn2_b64 vcc, exec, s[34:35]
	s_cbranch_vccz .LBB12_31
.LBB12_19:                              ;   in Loop: Header=BB12_17 Depth=3
	s_and_b64 vcc, exec, s[20:21]
	ds_write_b32 v11, v14
	s_cbranch_vccz .LBB12_36
.LBB12_20:                              ;   in Loop: Header=BB12_17 Depth=3
	s_mov_b64 s[36:37], 0
	s_mov_b64 s[34:35], 0
                                        ; implicit-def: $vgpr14
	s_and_saveexec_b64 s[38:39], s[4:5]
	s_cbranch_execz .LBB12_24
; %bb.21:                               ;   in Loop: Header=BB12_17 Depth=3
	v_add_u32_e32 v15, s45, v0
	v_cmp_gt_i32_e32 vcc, s33, v15
                                        ; implicit-def: $vgpr14
	s_and_saveexec_b64 s[40:41], vcc
	s_xor_b64 s[40:41], exec, s[40:41]
; %bb.22:                               ;   in Loop: Header=BB12_17 Depth=3
	v_add_u32_e32 v14, s13, v15
	s_mov_b64 s[34:35], exec
	v_mad_u64_u32 v[14:15], s[46:47], v14, s33, v[12:13]
; %bb.23:                               ;   in Loop: Header=BB12_17 Depth=3
	s_or_b64 exec, exec, s[40:41]
	s_and_b64 s[34:35], s[34:35], exec
.LBB12_24:                              ;   in Loop: Header=BB12_17 Depth=3
	s_or_b64 exec, exec, s[38:39]
	s_and_b64 vcc, exec, s[36:37]
	s_cbranch_vccnz .LBB12_37
.LBB12_25:                              ;   in Loop: Header=BB12_17 Depth=3
	v_mov_b32_e32 v15, 0
	s_and_saveexec_b64 s[36:37], s[34:35]
	s_cbranch_execz .LBB12_16
	s_branch .LBB12_42
.LBB12_26:                              ;   in Loop: Header=BB12_17 Depth=3
	v_mov_b32_e32 v14, 0
	s_and_saveexec_b64 s[34:35], s[0:1]
	s_cbranch_execz .LBB12_30
; %bb.27:                               ;   in Loop: Header=BB12_17 Depth=3
	v_add_u32_e32 v14, s45, v1
	v_cmp_gt_i32_e32 vcc, s33, v14
	v_mov_b32_e32 v14, 0
	s_and_saveexec_b64 s[36:37], vcc
	s_cbranch_execz .LBB12_29
; %bb.28:                               ;   in Loop: Header=BB12_17 Depth=3
	v_add_u32_e32 v14, s45, v23
	v_ashrrev_i32_e32 v15, 31, v14
	v_mul_lo_u32 v24, s22, v15
	v_mul_lo_u32 v25, s23, v14
	v_mad_u64_u32 v[14:15], s[38:39], s22, v14, 0
	v_add3_u32 v15, v15, v24, v25
	v_lshl_add_u64 v[14:15], v[14:15], 1, v[2:3]
	global_load_ushort v14, v[14:15], off
	s_waitcnt vmcnt(0)
	v_cvt_f32_f16_e32 v14, v14
.LBB12_29:                              ;   in Loop: Header=BB12_17 Depth=3
	s_or_b64 exec, exec, s[36:37]
.LBB12_30:                              ;   in Loop: Header=BB12_17 Depth=3
	s_or_b64 exec, exec, s[34:35]
	s_cbranch_execnz .LBB12_19
.LBB12_31:                              ;   in Loop: Header=BB12_17 Depth=3
	v_mov_b32_e32 v14, 0
	s_and_saveexec_b64 s[34:35], s[0:1]
	s_cbranch_execz .LBB12_35
; %bb.32:                               ;   in Loop: Header=BB12_17 Depth=3
	v_add_u32_e32 v14, s45, v1
	v_cmp_gt_i32_e32 vcc, s33, v14
	v_mov_b32_e32 v14, 0
	s_and_saveexec_b64 s[36:37], vcc
	s_cbranch_execz .LBB12_34
; %bb.33:                               ;   in Loop: Header=BB12_17 Depth=3
	v_add_u32_e32 v14, s45, v23
	v_ashrrev_i32_e32 v15, 31, v14
	v_lshl_add_u64 v[14:15], v[14:15], 1, v[4:5]
	global_load_ushort v14, v[14:15], off
	s_waitcnt vmcnt(0)
	v_cvt_f32_f16_e32 v14, v14
.LBB12_34:                              ;   in Loop: Header=BB12_17 Depth=3
	s_or_b64 exec, exec, s[36:37]
.LBB12_35:                              ;   in Loop: Header=BB12_17 Depth=3
	s_or_b64 exec, exec, s[34:35]
	s_and_b64 vcc, exec, s[20:21]
	ds_write_b32 v11, v14
	s_cbranch_vccnz .LBB12_20
.LBB12_36:                              ;   in Loop: Header=BB12_17 Depth=3
	s_mov_b64 s[34:35], 0
                                        ; implicit-def: $vgpr14
	s_cbranch_execz .LBB12_25
.LBB12_37:                              ;   in Loop: Header=BB12_17 Depth=3
                                        ; implicit-def: $vgpr14
	s_and_saveexec_b64 s[36:37], s[4:5]
	s_cbranch_execz .LBB12_41
; %bb.38:                               ;   in Loop: Header=BB12_17 Depth=3
	v_add_u32_e32 v14, s45, v0
	v_cmp_gt_i32_e32 vcc, s33, v14
	s_mov_b64 s[38:39], s[34:35]
                                        ; implicit-def: $vgpr14
	s_and_saveexec_b64 s[40:41], vcc
; %bb.39:                               ;   in Loop: Header=BB12_17 Depth=3
	v_add_u32_e32 v14, s45, v13
	s_or_b64 s[38:39], s[34:35], exec
; %bb.40:                               ;   in Loop: Header=BB12_17 Depth=3
	s_or_b64 exec, exec, s[40:41]
	s_andn2_b64 s[34:35], s[34:35], exec
	s_and_b64 s[38:39], s[38:39], exec
	s_or_b64 s[34:35], s[34:35], s[38:39]
.LBB12_41:                              ;   in Loop: Header=BB12_17 Depth=3
	s_or_b64 exec, exec, s[36:37]
	v_mov_b32_e32 v15, 0
	s_and_saveexec_b64 s[36:37], s[34:35]
	s_cbranch_execz .LBB12_16
.LBB12_42:                              ;   in Loop: Header=BB12_17 Depth=3
	v_ashrrev_i32_e32 v15, 31, v14
	v_lshl_add_u64 v[14:15], v[14:15], 1, s[18:19]
	global_load_ushort v14, v[14:15], off
	s_waitcnt vmcnt(0)
	v_cvt_f32_f16_e32 v15, v14
	s_branch .LBB12_16
.LBB12_43:                              ;   in Loop: Header=BB12_12 Depth=1
	v_cmp_gt_i32_e32 vcc, s33, v12
	s_and_b64 s[12:13], s[24:25], vcc
	s_and_saveexec_b64 s[4:5], s[12:13]
	s_cbranch_execz .LBB12_11
; %bb.44:                               ;   in Loop: Header=BB12_12 Depth=1
	v_add_u32_e32 v12, s42, v12
	s_and_b64 vcc, exec, s[26:27]
	v_ashrrev_i32_e32 v13, 31, v12
	s_mov_b64 s[12:13], -1
	s_cbranch_vccz .LBB12_50
; %bb.45:                               ;   in Loop: Header=BB12_12 Depth=1
	s_and_b64 vcc, exec, s[30:31]
	s_cbranch_vccz .LBB12_47
; %bb.46:                               ;   in Loop: Header=BB12_12 Depth=1
	v_mul_lo_u32 v23, s15, v12
	v_mul_lo_u32 v24, s14, v13
	v_mad_u64_u32 v[14:15], s[12:13], s14, v12, 0
	v_add3_u32 v15, v15, v24, v23
	v_lshl_add_u64 v[14:15], v[14:15], 2, v[6:7]
	global_load_dword v23, v[14:15], off
	v_mul_f32_e32 v24, s6, v22
	s_mov_b64 s[12:13], 0
	s_waitcnt vmcnt(0)
	v_fmac_f32_e32 v24, s10, v23
	global_store_dword v[14:15], v24, off
.LBB12_47:                              ;   in Loop: Header=BB12_12 Depth=1
	s_andn2_b64 vcc, exec, s[12:13]
	s_cbranch_vccnz .LBB12_49
; %bb.48:                               ;   in Loop: Header=BB12_12 Depth=1
	v_lshl_add_u64 v[14:15], v[12:13], 2, v[8:9]
	global_load_dword v23, v[14:15], off
	v_mul_f32_e32 v24, s6, v22
	s_waitcnt vmcnt(0)
	v_fmac_f32_e32 v24, s10, v23
	global_store_dword v[14:15], v24, off
.LBB12_49:                              ;   in Loop: Header=BB12_12 Depth=1
	s_mov_b64 s[12:13], 0
.LBB12_50:                              ;   in Loop: Header=BB12_12 Depth=1
	s_andn2_b64 vcc, exec, s[12:13]
	s_cbranch_vccnz .LBB12_11
; %bb.51:                               ;   in Loop: Header=BB12_12 Depth=1
	v_mul_f32_e32 v14, s6, v22
	s_mov_b64 s[12:13], -1
	s_and_b64 vcc, exec, s[30:31]
	s_cbranch_vccz .LBB12_53
; %bb.52:                               ;   in Loop: Header=BB12_12 Depth=1
	v_mul_lo_u32 v15, s15, v12
	v_mul_lo_u32 v24, s14, v13
	v_mad_u64_u32 v[22:23], s[12:13], s14, v12, 0
	v_add3_u32 v23, v23, v24, v15
	v_lshl_add_u64 v[22:23], v[22:23], 2, v[6:7]
	global_store_dword v[22:23], v14, off
	s_mov_b64 s[12:13], 0
.LBB12_53:                              ;   in Loop: Header=BB12_12 Depth=1
	s_andn2_b64 vcc, exec, s[12:13]
	s_cbranch_vccnz .LBB12_11
; %bb.54:                               ;   in Loop: Header=BB12_12 Depth=1
	v_lshl_add_u64 v[12:13], v[12:13], 2, v[8:9]
	global_store_dword v[12:13], v14, off
	s_branch .LBB12_11
.LBB12_55:
	s_endpgm
	.section	.rodata,"a",@progbits
	.p2align	6, 0x0
	.amdhsa_kernel _ZN9rocsparseL29bsrmm_general_blockdim_kernelILj32ELj32EiiDF16_DF16_ffEEvb20rocsparse_direction_T2_S2_llNS_24const_host_device_scalarIT6_EEPKT1_PKS2_PKT3_S2_PKT4_llS5_PT5_ll16rocsparse_order_21rocsparse_index_base_b
		.amdhsa_group_segment_fixed_size 8192
		.amdhsa_private_segment_fixed_size 0
		.amdhsa_kernarg_size 140
		.amdhsa_user_sgpr_count 2
		.amdhsa_user_sgpr_dispatch_ptr 0
		.amdhsa_user_sgpr_queue_ptr 0
		.amdhsa_user_sgpr_kernarg_segment_ptr 1
		.amdhsa_user_sgpr_dispatch_id 0
		.amdhsa_user_sgpr_kernarg_preload_length 0
		.amdhsa_user_sgpr_kernarg_preload_offset 0
		.amdhsa_user_sgpr_private_segment_size 0
		.amdhsa_uses_dynamic_stack 0
		.amdhsa_enable_private_segment 0
		.amdhsa_system_sgpr_workgroup_id_x 1
		.amdhsa_system_sgpr_workgroup_id_y 1
		.amdhsa_system_sgpr_workgroup_id_z 0
		.amdhsa_system_sgpr_workgroup_info 0
		.amdhsa_system_vgpr_workitem_id 1
		.amdhsa_next_free_vgpr 44
		.amdhsa_next_free_sgpr 48
		.amdhsa_accum_offset 44
		.amdhsa_reserve_vcc 1
		.amdhsa_float_round_mode_32 0
		.amdhsa_float_round_mode_16_64 0
		.amdhsa_float_denorm_mode_32 3
		.amdhsa_float_denorm_mode_16_64 3
		.amdhsa_dx10_clamp 1
		.amdhsa_ieee_mode 1
		.amdhsa_fp16_overflow 0
		.amdhsa_tg_split 0
		.amdhsa_exception_fp_ieee_invalid_op 0
		.amdhsa_exception_fp_denorm_src 0
		.amdhsa_exception_fp_ieee_div_zero 0
		.amdhsa_exception_fp_ieee_overflow 0
		.amdhsa_exception_fp_ieee_underflow 0
		.amdhsa_exception_fp_ieee_inexact 0
		.amdhsa_exception_int_div_zero 0
	.end_amdhsa_kernel
	.section	.text._ZN9rocsparseL29bsrmm_general_blockdim_kernelILj32ELj32EiiDF16_DF16_ffEEvb20rocsparse_direction_T2_S2_llNS_24const_host_device_scalarIT6_EEPKT1_PKS2_PKT3_S2_PKT4_llS5_PT5_ll16rocsparse_order_21rocsparse_index_base_b,"axG",@progbits,_ZN9rocsparseL29bsrmm_general_blockdim_kernelILj32ELj32EiiDF16_DF16_ffEEvb20rocsparse_direction_T2_S2_llNS_24const_host_device_scalarIT6_EEPKT1_PKS2_PKT3_S2_PKT4_llS5_PT5_ll16rocsparse_order_21rocsparse_index_base_b,comdat
.Lfunc_end12:
	.size	_ZN9rocsparseL29bsrmm_general_blockdim_kernelILj32ELj32EiiDF16_DF16_ffEEvb20rocsparse_direction_T2_S2_llNS_24const_host_device_scalarIT6_EEPKT1_PKS2_PKT3_S2_PKT4_llS5_PT5_ll16rocsparse_order_21rocsparse_index_base_b, .Lfunc_end12-_ZN9rocsparseL29bsrmm_general_blockdim_kernelILj32ELj32EiiDF16_DF16_ffEEvb20rocsparse_direction_T2_S2_llNS_24const_host_device_scalarIT6_EEPKT1_PKS2_PKT3_S2_PKT4_llS5_PT5_ll16rocsparse_order_21rocsparse_index_base_b
                                        ; -- End function
	.set _ZN9rocsparseL29bsrmm_general_blockdim_kernelILj32ELj32EiiDF16_DF16_ffEEvb20rocsparse_direction_T2_S2_llNS_24const_host_device_scalarIT6_EEPKT1_PKS2_PKT3_S2_PKT4_llS5_PT5_ll16rocsparse_order_21rocsparse_index_base_b.num_vgpr, 44
	.set _ZN9rocsparseL29bsrmm_general_blockdim_kernelILj32ELj32EiiDF16_DF16_ffEEvb20rocsparse_direction_T2_S2_llNS_24const_host_device_scalarIT6_EEPKT1_PKS2_PKT3_S2_PKT4_llS5_PT5_ll16rocsparse_order_21rocsparse_index_base_b.num_agpr, 0
	.set _ZN9rocsparseL29bsrmm_general_blockdim_kernelILj32ELj32EiiDF16_DF16_ffEEvb20rocsparse_direction_T2_S2_llNS_24const_host_device_scalarIT6_EEPKT1_PKS2_PKT3_S2_PKT4_llS5_PT5_ll16rocsparse_order_21rocsparse_index_base_b.numbered_sgpr, 48
	.set _ZN9rocsparseL29bsrmm_general_blockdim_kernelILj32ELj32EiiDF16_DF16_ffEEvb20rocsparse_direction_T2_S2_llNS_24const_host_device_scalarIT6_EEPKT1_PKS2_PKT3_S2_PKT4_llS5_PT5_ll16rocsparse_order_21rocsparse_index_base_b.num_named_barrier, 0
	.set _ZN9rocsparseL29bsrmm_general_blockdim_kernelILj32ELj32EiiDF16_DF16_ffEEvb20rocsparse_direction_T2_S2_llNS_24const_host_device_scalarIT6_EEPKT1_PKS2_PKT3_S2_PKT4_llS5_PT5_ll16rocsparse_order_21rocsparse_index_base_b.private_seg_size, 0
	.set _ZN9rocsparseL29bsrmm_general_blockdim_kernelILj32ELj32EiiDF16_DF16_ffEEvb20rocsparse_direction_T2_S2_llNS_24const_host_device_scalarIT6_EEPKT1_PKS2_PKT3_S2_PKT4_llS5_PT5_ll16rocsparse_order_21rocsparse_index_base_b.uses_vcc, 1
	.set _ZN9rocsparseL29bsrmm_general_blockdim_kernelILj32ELj32EiiDF16_DF16_ffEEvb20rocsparse_direction_T2_S2_llNS_24const_host_device_scalarIT6_EEPKT1_PKS2_PKT3_S2_PKT4_llS5_PT5_ll16rocsparse_order_21rocsparse_index_base_b.uses_flat_scratch, 0
	.set _ZN9rocsparseL29bsrmm_general_blockdim_kernelILj32ELj32EiiDF16_DF16_ffEEvb20rocsparse_direction_T2_S2_llNS_24const_host_device_scalarIT6_EEPKT1_PKS2_PKT3_S2_PKT4_llS5_PT5_ll16rocsparse_order_21rocsparse_index_base_b.has_dyn_sized_stack, 0
	.set _ZN9rocsparseL29bsrmm_general_blockdim_kernelILj32ELj32EiiDF16_DF16_ffEEvb20rocsparse_direction_T2_S2_llNS_24const_host_device_scalarIT6_EEPKT1_PKS2_PKT3_S2_PKT4_llS5_PT5_ll16rocsparse_order_21rocsparse_index_base_b.has_recursion, 0
	.set _ZN9rocsparseL29bsrmm_general_blockdim_kernelILj32ELj32EiiDF16_DF16_ffEEvb20rocsparse_direction_T2_S2_llNS_24const_host_device_scalarIT6_EEPKT1_PKS2_PKT3_S2_PKT4_llS5_PT5_ll16rocsparse_order_21rocsparse_index_base_b.has_indirect_call, 0
	.section	.AMDGPU.csdata,"",@progbits
; Kernel info:
; codeLenInByte = 1836
; TotalNumSgprs: 54
; NumVgprs: 44
; NumAgprs: 0
; TotalNumVgprs: 44
; ScratchSize: 0
; MemoryBound: 0
; FloatMode: 240
; IeeeMode: 1
; LDSByteSize: 8192 bytes/workgroup (compile time only)
; SGPRBlocks: 6
; VGPRBlocks: 5
; NumSGPRsForWavesPerEU: 54
; NumVGPRsForWavesPerEU: 44
; AccumOffset: 44
; Occupancy: 8
; WaveLimiterHint : 1
; COMPUTE_PGM_RSRC2:SCRATCH_EN: 0
; COMPUTE_PGM_RSRC2:USER_SGPR: 2
; COMPUTE_PGM_RSRC2:TRAP_HANDLER: 0
; COMPUTE_PGM_RSRC2:TGID_X_EN: 1
; COMPUTE_PGM_RSRC2:TGID_Y_EN: 1
; COMPUTE_PGM_RSRC2:TGID_Z_EN: 0
; COMPUTE_PGM_RSRC2:TIDIG_COMP_CNT: 1
; COMPUTE_PGM_RSRC3_GFX90A:ACCUM_OFFSET: 10
; COMPUTE_PGM_RSRC3_GFX90A:TG_SPLIT: 0
	.section	.text._ZN9rocsparseL29bsrmm_general_blockdim_kernelILj32ELj32EliDF16_DF16_ffEEvb20rocsparse_direction_T2_S2_llNS_24const_host_device_scalarIT6_EEPKT1_PKS2_PKT3_S2_PKT4_llS5_PT5_ll16rocsparse_order_21rocsparse_index_base_b,"axG",@progbits,_ZN9rocsparseL29bsrmm_general_blockdim_kernelILj32ELj32EliDF16_DF16_ffEEvb20rocsparse_direction_T2_S2_llNS_24const_host_device_scalarIT6_EEPKT1_PKS2_PKT3_S2_PKT4_llS5_PT5_ll16rocsparse_order_21rocsparse_index_base_b,comdat
	.globl	_ZN9rocsparseL29bsrmm_general_blockdim_kernelILj32ELj32EliDF16_DF16_ffEEvb20rocsparse_direction_T2_S2_llNS_24const_host_device_scalarIT6_EEPKT1_PKS2_PKT3_S2_PKT4_llS5_PT5_ll16rocsparse_order_21rocsparse_index_base_b ; -- Begin function _ZN9rocsparseL29bsrmm_general_blockdim_kernelILj32ELj32EliDF16_DF16_ffEEvb20rocsparse_direction_T2_S2_llNS_24const_host_device_scalarIT6_EEPKT1_PKS2_PKT3_S2_PKT4_llS5_PT5_ll16rocsparse_order_21rocsparse_index_base_b
	.p2align	8
	.type	_ZN9rocsparseL29bsrmm_general_blockdim_kernelILj32ELj32EliDF16_DF16_ffEEvb20rocsparse_direction_T2_S2_llNS_24const_host_device_scalarIT6_EEPKT1_PKS2_PKT3_S2_PKT4_llS5_PT5_ll16rocsparse_order_21rocsparse_index_base_b,@function
_ZN9rocsparseL29bsrmm_general_blockdim_kernelILj32ELj32EliDF16_DF16_ffEEvb20rocsparse_direction_T2_S2_llNS_24const_host_device_scalarIT6_EEPKT1_PKS2_PKT3_S2_PKT4_llS5_PT5_ll16rocsparse_order_21rocsparse_index_base_b: ; @_ZN9rocsparseL29bsrmm_general_blockdim_kernelILj32ELj32EliDF16_DF16_ffEEvb20rocsparse_direction_T2_S2_llNS_24const_host_device_scalarIT6_EEPKT1_PKS2_PKT3_S2_PKT4_llS5_PT5_ll16rocsparse_order_21rocsparse_index_base_b
; %bb.0:
	s_load_dwordx4 s[8:11], s[0:1], 0x80
	s_mov_b32 s4, s3
	s_waitcnt lgkmcnt(0)
	s_bitcmp1_b32 s10, 0
	s_load_dwordx2 s[6:7], s[0:1], 0x20
	s_load_dwordx2 s[10:11], s[0:1], 0x60
	s_cselect_b64 s[14:15], -1, 0
	s_xor_b64 s[12:13], s[14:15], -1
	s_and_b64 vcc, exec, s[14:15]
	s_cbranch_vccnz .LBB13_2
; %bb.1:
	s_waitcnt lgkmcnt(0)
	s_load_dword s6, s[6:7], 0x0
.LBB13_2:
	s_andn2_b64 vcc, exec, s[12:13]
	s_cbranch_vccnz .LBB13_4
; %bb.3:
	s_waitcnt lgkmcnt(0)
	s_load_dword s10, s[10:11], 0x0
.LBB13_4:
	s_waitcnt lgkmcnt(0)
	v_cmp_eq_f32_e64 s[12:13], s6, 0
	v_cmp_eq_f32_e64 s[14:15], s10, 1.0
	s_and_b64 s[12:13], s[12:13], s[14:15]
	s_and_b64 vcc, exec, s[12:13]
	s_cbranch_vccnz .LBB13_51
; %bb.5:
	s_load_dwordx4 s[24:27], s[0:1], 0x0
	s_load_dwordx2 s[12:13], s[0:1], 0x28
	s_mov_b64 s[36:37], 0
	s_mov_b64 s[28:29], 0
	s_waitcnt lgkmcnt(0)
	s_cmp_lt_i32 s2, s26
	s_cselect_b64 s[34:35], -1, 0
	s_cmp_ge_i32 s2, s26
	s_cbranch_scc0 .LBB13_8
; %bb.6:
	s_andn2_b64 vcc, exec, s[34:35]
	s_cbranch_vccz .LBB13_9
.LBB13_7:
	s_load_dword s7, s[0:1], 0x40
	s_waitcnt lgkmcnt(0)
	s_cmp_lt_i32 s7, 1
	s_cbranch_scc0 .LBB13_10
	s_branch .LBB13_51
.LBB13_8:
	s_ashr_i32 s3, s2, 31
	s_lshl_b64 s[14:15], s[2:3], 3
	s_add_u32 s14, s12, s14
	s_addc_u32 s15, s13, s15
	s_load_dwordx2 s[14:15], s[14:15], 0x0
	s_waitcnt lgkmcnt(0)
	s_sub_u32 s28, s14, s9
	s_subb_u32 s29, s15, 0
	s_andn2_b64 vcc, exec, s[34:35]
	s_cbranch_vccnz .LBB13_7
.LBB13_9:
	s_ashr_i32 s3, s2, 31
	s_lshl_b64 s[14:15], s[2:3], 3
	s_add_u32 s12, s12, s14
	s_addc_u32 s13, s13, s15
	s_load_dwordx2 s[12:13], s[12:13], 0x8
	s_waitcnt lgkmcnt(0)
	s_sub_u32 s36, s12, s9
	s_subb_u32 s37, s13, 0
	s_load_dword s7, s[0:1], 0x40
	s_waitcnt lgkmcnt(0)
	s_cmp_lt_i32 s7, 1
	s_cbranch_scc1 .LBB13_51
.LBB13_10:
	s_load_dwordx4 s[12:15], s[0:1], 0x68
	s_load_dwordx4 s[16:19], s[0:1], 0x30
	;; [unrolled: 1-line block ×3, first 2 shown]
	v_bfe_u32 v15, v0, 10, 10
	s_bitcmp1_b32 s24, 0
	v_lshl_add_u32 v8, s4, 5, v15
	s_cselect_b64 s[0:1], -1, 0
	v_ashrrev_i32_e32 v9, 31, v8
	s_xor_b64 s[30:31], s[0:1], -1
	s_mul_i32 s11, s7, s2
	s_waitcnt lgkmcnt(0)
	v_mul_lo_u32 v6, s22, v9
	v_mul_lo_u32 v7, s23, v8
	v_mad_u64_u32 v[4:5], s[2:3], s22, v8, 0
	v_and_b32_e32 v14, 0x3ff, v0
	v_mov_b64_e32 v[0:1], s[36:37]
	v_cmp_gt_i32_e64 s[0:1], s27, v8
	v_add3_u32 v5, v5, v6, v7
	s_cmp_lg_u32 s25, 0
	v_lshlrev_b32_e32 v16, 2, v14
	v_lshl_add_u64 v[2:3], v[8:9], 1, s[20:21]
	v_lshl_add_u64 v[4:5], v[4:5], 1, s[20:21]
	s_cselect_b64 s[20:21], -1, 0
	s_and_b64 s[24:25], s[34:35], s[0:1]
	v_lshl_add_u64 v[6:7], v[8:9], 2, s[12:13]
	v_mul_lo_u32 v11, s14, v9
	v_mul_lo_u32 v12, s15, v8
	v_mad_u64_u32 v[8:9], s[2:3], s14, v8, 0
	v_cmp_lt_i64_e32 vcc, s[28:29], v[0:1]
	v_or_b32_e32 v10, 0x1000, v16
	v_lshlrev_b32_e32 v17, 7, v15
	s_cmp_lg_u32 s8, 1
	v_add3_u32 v9, v9, v11, v12
	v_cndmask_b32_e64 v11, 0, 1, vcc
	s_mov_b32 s33, 0
	s_mul_i32 s46, s7, s7
	v_cmp_neq_f32_e64 s[26:27], s10, 0
	s_cselect_b64 s[34:35], -1, 0
	v_lshl_add_u64 v[8:9], v[8:9], 2, s[12:13]
	v_cmp_ne_u32_e64 s[2:3], 1, v11
	v_add_u32_e32 v18, v10, v17
	v_add_u32_e32 v19, v16, v17
	;; [unrolled: 1-line block ×5, first 2 shown]
	s_branch .LBB13_12
.LBB13_11:                              ;   in Loop: Header=BB13_12 Depth=1
	s_or_b64 exec, exec, s[4:5]
	s_add_i32 s33, s33, 32
	s_cmp_lt_i32 s33, s7
	s_cbranch_scc0 .LBB13_51
.LBB13_12:                              ; =>This Loop Header: Depth=1
                                        ;     Child Loop BB13_15 Depth 2
                                        ;       Child Loop BB13_17 Depth 3
	v_add_u32_e32 v24, s33, v14
	v_mov_b32_e32 v23, 0
	s_and_b64 vcc, exec, s[2:3]
	v_cmp_gt_i32_e64 s[4:5], s7, v24
	s_cbranch_vccnz .LBB13_39
; %bb.13:                               ;   in Loop: Header=BB13_12 Depth=1
	v_mul_lo_u32 v25, v24, s7
	v_mov_b32_e32 v23, 0
	s_mov_b64 s[12:13], s[28:29]
	s_branch .LBB13_15
.LBB13_14:                              ;   in Loop: Header=BB13_15 Depth=2
	s_add_u32 s12, s12, 1
	s_addc_u32 s13, s13, 0
	v_cmp_ge_i64_e32 vcc, s[12:13], v[0:1]
	s_cbranch_vccnz .LBB13_39
.LBB13_15:                              ;   Parent Loop BB13_12 Depth=1
                                        ; =>  This Loop Header: Depth=2
                                        ;       Child Loop BB13_17 Depth 3
	s_lshl_b64 s[36:37], s[12:13], 2
	s_add_u32 s36, s16, s36
	s_addc_u32 s37, s17, s37
	s_load_dword s8, s[36:37], 0x0
	s_mul_i32 s37, s13, s46
	s_mul_hi_u32 s38, s12, s46
	s_mul_i32 s36, s12, s46
	s_add_i32 s37, s38, s37
	s_waitcnt lgkmcnt(0)
	s_sub_i32 s8, s8, s9
	s_lshl_b64 s[36:37], s[36:37], 1
	s_mul_i32 s8, s8, s7
	s_add_u32 s36, s18, s36
	s_addc_u32 s37, s19, s37
	v_add_u32_e32 v26, s8, v14
	s_mov_b32 s8, 0
	s_branch .LBB13_17
.LBB13_16:                              ;   in Loop: Header=BB13_17 Depth=3
	s_or_b64 exec, exec, s[38:39]
	ds_write_b32 v19, v11
	s_waitcnt lgkmcnt(0)
	s_barrier
	ds_read2_b32 v[40:41], v16 offset1:32
	ds_read_b128 v[10:13], v17 offset:4096
	ds_read_b128 v[28:31], v17 offset:4112
	ds_read2_b32 v[42:43], v16 offset0:64 offset1:96
	ds_read_b128 v[32:35], v17 offset:4128
	ds_read_b128 v[36:39], v17 offset:4144
	ds_read2_b32 v[44:45], v16 offset0:128 offset1:160
	s_waitcnt lgkmcnt(5)
	v_fmac_f32_e32 v23, v40, v10
	v_fmac_f32_e32 v23, v41, v11
	ds_read2_b32 v[10:11], v16 offset0:192 offset1:224
	s_waitcnt lgkmcnt(4)
	v_fmac_f32_e32 v23, v42, v12
	v_fmac_f32_e32 v23, v43, v13
	ds_read2_b32 v[12:13], v20 offset1:32
	s_waitcnt lgkmcnt(2)
	v_fmac_f32_e32 v23, v44, v28
	v_fmac_f32_e32 v23, v45, v29
	ds_read2_b32 v[28:29], v20 offset0:64 offset1:96
	s_waitcnt lgkmcnt(2)
	v_fmac_f32_e32 v23, v10, v30
	v_fmac_f32_e32 v23, v11, v31
	s_waitcnt lgkmcnt(1)
	v_fmac_f32_e32 v23, v12, v32
	ds_read2_b32 v[10:11], v20 offset0:128 offset1:160
	v_fmac_f32_e32 v23, v13, v33
	s_waitcnt lgkmcnt(1)
	v_fmac_f32_e32 v23, v28, v34
	v_fmac_f32_e32 v23, v29, v35
	ds_read2_b32 v[28:29], v20 offset0:192 offset1:224
	s_waitcnt lgkmcnt(1)
	v_fmac_f32_e32 v23, v10, v36
	v_fmac_f32_e32 v23, v11, v37
	ds_read2_b32 v[32:33], v21 offset1:32
	ds_read_b128 v[10:13], v17 offset:4160
	s_add_i32 s8, s8, 32
	s_waitcnt lgkmcnt(2)
	v_fmac_f32_e32 v23, v28, v38
	v_fmac_f32_e32 v23, v29, v39
	ds_read2_b32 v[34:35], v21 offset0:64 offset1:96
	ds_read_b128 v[28:31], v17 offset:4176
	ds_read2_b32 v[36:37], v21 offset0:128 offset1:160
	s_waitcnt lgkmcnt(3)
	v_fmac_f32_e32 v23, v32, v10
	v_fmac_f32_e32 v23, v33, v11
	ds_read2_b32 v[32:33], v21 offset0:192 offset1:224
	s_waitcnt lgkmcnt(3)
	v_fmac_f32_e32 v23, v34, v12
	v_fmac_f32_e32 v23, v35, v13
	s_waitcnt lgkmcnt(1)
	v_fmac_f32_e32 v23, v36, v28
	ds_read2_b32 v[34:35], v22 offset1:32
	ds_read_b128 v[10:13], v17 offset:4192
	v_fmac_f32_e32 v23, v37, v29
	s_waitcnt lgkmcnt(2)
	v_fmac_f32_e32 v23, v32, v30
	v_fmac_f32_e32 v23, v33, v31
	ds_read2_b32 v[32:33], v22 offset0:64 offset1:96
	ds_read_b128 v[28:31], v17 offset:4208
	ds_read2_b32 v[36:37], v22 offset0:128 offset1:160
	s_waitcnt lgkmcnt(3)
	v_fmac_f32_e32 v23, v34, v10
	v_fmac_f32_e32 v23, v35, v11
	ds_read2_b32 v[10:11], v22 offset0:192 offset1:224
	s_waitcnt lgkmcnt(3)
	v_fmac_f32_e32 v23, v32, v12
	v_fmac_f32_e32 v23, v33, v13
	s_waitcnt lgkmcnt(1)
	v_fmac_f32_e32 v23, v36, v28
	v_fmac_f32_e32 v23, v37, v29
	;; [unrolled: 3-line block ×3, first 2 shown]
	s_cmp_ge_i32 s8, s7
	s_barrier
	s_cbranch_scc1 .LBB13_14
.LBB13_17:                              ;   Parent Loop BB13_12 Depth=1
                                        ;     Parent Loop BB13_15 Depth=2
                                        ; =>    This Inner Loop Header: Depth=3
	s_mov_b64 s[38:39], -1
	s_and_b64 vcc, exec, s[30:31]
                                        ; implicit-def: $vgpr10
	s_cbranch_vccnz .LBB13_26
; %bb.18:                               ;   in Loop: Header=BB13_17 Depth=3
	s_andn2_b64 vcc, exec, s[38:39]
	s_cbranch_vccz .LBB13_31
.LBB13_19:                              ;   in Loop: Header=BB13_17 Depth=3
	s_and_b64 vcc, exec, s[20:21]
	ds_write_b32 v18, v10
	s_cbranch_vccz .LBB13_36
.LBB13_20:                              ;   in Loop: Header=BB13_17 Depth=3
	s_mov_b64 s[38:39], 0
	s_mov_b64 s[40:41], 0
                                        ; implicit-def: $vgpr10
	s_and_saveexec_b64 s[42:43], s[4:5]
	s_cbranch_execz .LBB13_24
; %bb.21:                               ;   in Loop: Header=BB13_17 Depth=3
	v_add_u32_e32 v11, s8, v15
	v_cmp_gt_i32_e32 vcc, s7, v11
                                        ; implicit-def: $vgpr10
	s_and_saveexec_b64 s[44:45], vcc
	s_xor_b64 s[44:45], exec, s[44:45]
; %bb.22:                               ;   in Loop: Header=BB13_17 Depth=3
	s_mov_b64 s[40:41], exec
	v_mul_lo_u32 v10, v11, s7
; %bb.23:                               ;   in Loop: Header=BB13_17 Depth=3
	s_or_b64 exec, exec, s[44:45]
	s_and_b64 s[40:41], s[40:41], exec
.LBB13_24:                              ;   in Loop: Header=BB13_17 Depth=3
	s_or_b64 exec, exec, s[42:43]
	s_and_b64 vcc, exec, s[38:39]
	s_cbranch_vccz .LBB13_37
.LBB13_25:                              ;   in Loop: Header=BB13_17 Depth=3
	v_add_u32_e32 v10, s8, v15
	v_cmp_gt_i32_e32 vcc, s7, v10
	s_and_b64 s[38:39], s[4:5], vcc
	s_andn2_b64 s[40:41], s[40:41], exec
	s_and_b64 s[38:39], s[38:39], exec
	s_or_b64 s[40:41], s[40:41], s[38:39]
	v_mov_b32_e32 v12, v25
	v_mov_b32_e32 v11, 0
	s_and_saveexec_b64 s[38:39], s[40:41]
	s_cbranch_execz .LBB13_16
	s_branch .LBB13_38
.LBB13_26:                              ;   in Loop: Header=BB13_17 Depth=3
	v_mov_b32_e32 v10, 0
	s_and_saveexec_b64 s[38:39], s[0:1]
	s_cbranch_execz .LBB13_30
; %bb.27:                               ;   in Loop: Header=BB13_17 Depth=3
	v_add_u32_e32 v10, s8, v14
	v_cmp_gt_i32_e32 vcc, s7, v10
	v_mov_b32_e32 v10, 0
	s_and_saveexec_b64 s[40:41], vcc
	s_cbranch_execz .LBB13_29
; %bb.28:                               ;   in Loop: Header=BB13_17 Depth=3
	v_add_u32_e32 v10, s8, v26
	v_ashrrev_i32_e32 v11, 31, v10
	v_mul_lo_u32 v12, s22, v11
	v_mul_lo_u32 v13, s23, v10
	v_mad_u64_u32 v[10:11], s[42:43], s22, v10, 0
	v_add3_u32 v11, v11, v12, v13
	v_lshl_add_u64 v[10:11], v[10:11], 1, v[2:3]
	global_load_ushort v10, v[10:11], off
	s_waitcnt vmcnt(0)
	v_cvt_f32_f16_e32 v10, v10
.LBB13_29:                              ;   in Loop: Header=BB13_17 Depth=3
	s_or_b64 exec, exec, s[40:41]
.LBB13_30:                              ;   in Loop: Header=BB13_17 Depth=3
	s_or_b64 exec, exec, s[38:39]
	s_cbranch_execnz .LBB13_19
.LBB13_31:                              ;   in Loop: Header=BB13_17 Depth=3
	v_mov_b32_e32 v10, 0
	s_and_saveexec_b64 s[38:39], s[0:1]
	s_cbranch_execz .LBB13_35
; %bb.32:                               ;   in Loop: Header=BB13_17 Depth=3
	v_add_u32_e32 v10, s8, v14
	v_cmp_gt_i32_e32 vcc, s7, v10
	v_mov_b32_e32 v10, 0
	s_and_saveexec_b64 s[40:41], vcc
	s_cbranch_execz .LBB13_34
; %bb.33:                               ;   in Loop: Header=BB13_17 Depth=3
	v_add_u32_e32 v10, s8, v26
	v_ashrrev_i32_e32 v11, 31, v10
	v_lshl_add_u64 v[10:11], v[10:11], 1, v[4:5]
	global_load_ushort v10, v[10:11], off
	s_waitcnt vmcnt(0)
	v_cvt_f32_f16_e32 v10, v10
.LBB13_34:                              ;   in Loop: Header=BB13_17 Depth=3
	s_or_b64 exec, exec, s[40:41]
.LBB13_35:                              ;   in Loop: Header=BB13_17 Depth=3
	s_or_b64 exec, exec, s[38:39]
	s_and_b64 vcc, exec, s[20:21]
	ds_write_b32 v18, v10
	s_cbranch_vccnz .LBB13_20
.LBB13_36:                              ;   in Loop: Header=BB13_17 Depth=3
	s_mov_b64 s[40:41], 0
                                        ; implicit-def: $vgpr10
	s_cbranch_execnz .LBB13_25
.LBB13_37:                              ;   in Loop: Header=BB13_17 Depth=3
	v_mov_b32_e32 v12, v24
	v_mov_b32_e32 v11, 0
	s_and_saveexec_b64 s[38:39], s[40:41]
	s_cbranch_execz .LBB13_16
.LBB13_38:                              ;   in Loop: Header=BB13_17 Depth=3
	v_ashrrev_i32_e32 v13, 31, v12
	v_lshl_add_u64 v[12:13], v[12:13], 1, s[36:37]
	v_ashrrev_i32_e32 v11, 31, v10
	v_lshl_add_u64 v[10:11], v[10:11], 1, v[12:13]
	global_load_ushort v10, v[10:11], off
	s_waitcnt vmcnt(0)
	v_cvt_f32_f16_e32 v11, v10
	s_branch .LBB13_16
.LBB13_39:                              ;   in Loop: Header=BB13_12 Depth=1
	v_cmp_gt_i32_e32 vcc, s7, v24
	s_and_b64 s[12:13], s[24:25], vcc
	s_and_saveexec_b64 s[4:5], s[12:13]
	s_cbranch_execz .LBB13_11
; %bb.40:                               ;   in Loop: Header=BB13_12 Depth=1
	v_add_u32_e32 v10, s11, v24
	s_and_b64 vcc, exec, s[26:27]
	v_ashrrev_i32_e32 v11, 31, v10
	s_mov_b64 s[12:13], -1
	s_cbranch_vccz .LBB13_46
; %bb.41:                               ;   in Loop: Header=BB13_12 Depth=1
	s_and_b64 vcc, exec, s[34:35]
	s_cbranch_vccz .LBB13_43
; %bb.42:                               ;   in Loop: Header=BB13_12 Depth=1
	v_mul_lo_u32 v24, s15, v10
	v_mul_lo_u32 v25, s14, v11
	v_mad_u64_u32 v[12:13], s[12:13], s14, v10, 0
	v_add3_u32 v13, v13, v25, v24
	v_lshl_add_u64 v[12:13], v[12:13], 2, v[6:7]
	global_load_dword v24, v[12:13], off
	v_mul_f32_e32 v25, s6, v23
	s_mov_b64 s[12:13], 0
	s_waitcnt vmcnt(0)
	v_fmac_f32_e32 v25, s10, v24
	global_store_dword v[12:13], v25, off
.LBB13_43:                              ;   in Loop: Header=BB13_12 Depth=1
	s_andn2_b64 vcc, exec, s[12:13]
	s_cbranch_vccnz .LBB13_45
; %bb.44:                               ;   in Loop: Header=BB13_12 Depth=1
	v_lshl_add_u64 v[12:13], v[10:11], 2, v[8:9]
	global_load_dword v24, v[12:13], off
	v_mul_f32_e32 v25, s6, v23
	s_waitcnt vmcnt(0)
	v_fmac_f32_e32 v25, s10, v24
	global_store_dword v[12:13], v25, off
.LBB13_45:                              ;   in Loop: Header=BB13_12 Depth=1
	s_mov_b64 s[12:13], 0
.LBB13_46:                              ;   in Loop: Header=BB13_12 Depth=1
	s_andn2_b64 vcc, exec, s[12:13]
	s_cbranch_vccnz .LBB13_11
; %bb.47:                               ;   in Loop: Header=BB13_12 Depth=1
	v_mul_f32_e32 v12, s6, v23
	s_mov_b64 s[12:13], -1
	s_and_b64 vcc, exec, s[34:35]
	s_cbranch_vccz .LBB13_49
; %bb.48:                               ;   in Loop: Header=BB13_12 Depth=1
	v_mul_lo_u32 v13, s15, v10
	v_mul_lo_u32 v23, s14, v11
	v_mad_u64_u32 v[24:25], s[12:13], s14, v10, 0
	v_add3_u32 v25, v25, v23, v13
	v_lshl_add_u64 v[24:25], v[24:25], 2, v[6:7]
	global_store_dword v[24:25], v12, off
	s_mov_b64 s[12:13], 0
.LBB13_49:                              ;   in Loop: Header=BB13_12 Depth=1
	s_andn2_b64 vcc, exec, s[12:13]
	s_cbranch_vccnz .LBB13_11
; %bb.50:                               ;   in Loop: Header=BB13_12 Depth=1
	v_lshl_add_u64 v[10:11], v[10:11], 2, v[8:9]
	global_store_dword v[10:11], v12, off
	s_branch .LBB13_11
.LBB13_51:
	s_endpgm
	.section	.rodata,"a",@progbits
	.p2align	6, 0x0
	.amdhsa_kernel _ZN9rocsparseL29bsrmm_general_blockdim_kernelILj32ELj32EliDF16_DF16_ffEEvb20rocsparse_direction_T2_S2_llNS_24const_host_device_scalarIT6_EEPKT1_PKS2_PKT3_S2_PKT4_llS5_PT5_ll16rocsparse_order_21rocsparse_index_base_b
		.amdhsa_group_segment_fixed_size 8192
		.amdhsa_private_segment_fixed_size 0
		.amdhsa_kernarg_size 140
		.amdhsa_user_sgpr_count 2
		.amdhsa_user_sgpr_dispatch_ptr 0
		.amdhsa_user_sgpr_queue_ptr 0
		.amdhsa_user_sgpr_kernarg_segment_ptr 1
		.amdhsa_user_sgpr_dispatch_id 0
		.amdhsa_user_sgpr_kernarg_preload_length 0
		.amdhsa_user_sgpr_kernarg_preload_offset 0
		.amdhsa_user_sgpr_private_segment_size 0
		.amdhsa_uses_dynamic_stack 0
		.amdhsa_enable_private_segment 0
		.amdhsa_system_sgpr_workgroup_id_x 1
		.amdhsa_system_sgpr_workgroup_id_y 1
		.amdhsa_system_sgpr_workgroup_id_z 0
		.amdhsa_system_sgpr_workgroup_info 0
		.amdhsa_system_vgpr_workitem_id 1
		.amdhsa_next_free_vgpr 46
		.amdhsa_next_free_sgpr 47
		.amdhsa_accum_offset 48
		.amdhsa_reserve_vcc 1
		.amdhsa_float_round_mode_32 0
		.amdhsa_float_round_mode_16_64 0
		.amdhsa_float_denorm_mode_32 3
		.amdhsa_float_denorm_mode_16_64 3
		.amdhsa_dx10_clamp 1
		.amdhsa_ieee_mode 1
		.amdhsa_fp16_overflow 0
		.amdhsa_tg_split 0
		.amdhsa_exception_fp_ieee_invalid_op 0
		.amdhsa_exception_fp_denorm_src 0
		.amdhsa_exception_fp_ieee_div_zero 0
		.amdhsa_exception_fp_ieee_overflow 0
		.amdhsa_exception_fp_ieee_underflow 0
		.amdhsa_exception_fp_ieee_inexact 0
		.amdhsa_exception_int_div_zero 0
	.end_amdhsa_kernel
	.section	.text._ZN9rocsparseL29bsrmm_general_blockdim_kernelILj32ELj32EliDF16_DF16_ffEEvb20rocsparse_direction_T2_S2_llNS_24const_host_device_scalarIT6_EEPKT1_PKS2_PKT3_S2_PKT4_llS5_PT5_ll16rocsparse_order_21rocsparse_index_base_b,"axG",@progbits,_ZN9rocsparseL29bsrmm_general_blockdim_kernelILj32ELj32EliDF16_DF16_ffEEvb20rocsparse_direction_T2_S2_llNS_24const_host_device_scalarIT6_EEPKT1_PKS2_PKT3_S2_PKT4_llS5_PT5_ll16rocsparse_order_21rocsparse_index_base_b,comdat
.Lfunc_end13:
	.size	_ZN9rocsparseL29bsrmm_general_blockdim_kernelILj32ELj32EliDF16_DF16_ffEEvb20rocsparse_direction_T2_S2_llNS_24const_host_device_scalarIT6_EEPKT1_PKS2_PKT3_S2_PKT4_llS5_PT5_ll16rocsparse_order_21rocsparse_index_base_b, .Lfunc_end13-_ZN9rocsparseL29bsrmm_general_blockdim_kernelILj32ELj32EliDF16_DF16_ffEEvb20rocsparse_direction_T2_S2_llNS_24const_host_device_scalarIT6_EEPKT1_PKS2_PKT3_S2_PKT4_llS5_PT5_ll16rocsparse_order_21rocsparse_index_base_b
                                        ; -- End function
	.set _ZN9rocsparseL29bsrmm_general_blockdim_kernelILj32ELj32EliDF16_DF16_ffEEvb20rocsparse_direction_T2_S2_llNS_24const_host_device_scalarIT6_EEPKT1_PKS2_PKT3_S2_PKT4_llS5_PT5_ll16rocsparse_order_21rocsparse_index_base_b.num_vgpr, 46
	.set _ZN9rocsparseL29bsrmm_general_blockdim_kernelILj32ELj32EliDF16_DF16_ffEEvb20rocsparse_direction_T2_S2_llNS_24const_host_device_scalarIT6_EEPKT1_PKS2_PKT3_S2_PKT4_llS5_PT5_ll16rocsparse_order_21rocsparse_index_base_b.num_agpr, 0
	.set _ZN9rocsparseL29bsrmm_general_blockdim_kernelILj32ELj32EliDF16_DF16_ffEEvb20rocsparse_direction_T2_S2_llNS_24const_host_device_scalarIT6_EEPKT1_PKS2_PKT3_S2_PKT4_llS5_PT5_ll16rocsparse_order_21rocsparse_index_base_b.numbered_sgpr, 47
	.set _ZN9rocsparseL29bsrmm_general_blockdim_kernelILj32ELj32EliDF16_DF16_ffEEvb20rocsparse_direction_T2_S2_llNS_24const_host_device_scalarIT6_EEPKT1_PKS2_PKT3_S2_PKT4_llS5_PT5_ll16rocsparse_order_21rocsparse_index_base_b.num_named_barrier, 0
	.set _ZN9rocsparseL29bsrmm_general_blockdim_kernelILj32ELj32EliDF16_DF16_ffEEvb20rocsparse_direction_T2_S2_llNS_24const_host_device_scalarIT6_EEPKT1_PKS2_PKT3_S2_PKT4_llS5_PT5_ll16rocsparse_order_21rocsparse_index_base_b.private_seg_size, 0
	.set _ZN9rocsparseL29bsrmm_general_blockdim_kernelILj32ELj32EliDF16_DF16_ffEEvb20rocsparse_direction_T2_S2_llNS_24const_host_device_scalarIT6_EEPKT1_PKS2_PKT3_S2_PKT4_llS5_PT5_ll16rocsparse_order_21rocsparse_index_base_b.uses_vcc, 1
	.set _ZN9rocsparseL29bsrmm_general_blockdim_kernelILj32ELj32EliDF16_DF16_ffEEvb20rocsparse_direction_T2_S2_llNS_24const_host_device_scalarIT6_EEPKT1_PKS2_PKT3_S2_PKT4_llS5_PT5_ll16rocsparse_order_21rocsparse_index_base_b.uses_flat_scratch, 0
	.set _ZN9rocsparseL29bsrmm_general_blockdim_kernelILj32ELj32EliDF16_DF16_ffEEvb20rocsparse_direction_T2_S2_llNS_24const_host_device_scalarIT6_EEPKT1_PKS2_PKT3_S2_PKT4_llS5_PT5_ll16rocsparse_order_21rocsparse_index_base_b.has_dyn_sized_stack, 0
	.set _ZN9rocsparseL29bsrmm_general_blockdim_kernelILj32ELj32EliDF16_DF16_ffEEvb20rocsparse_direction_T2_S2_llNS_24const_host_device_scalarIT6_EEPKT1_PKS2_PKT3_S2_PKT4_llS5_PT5_ll16rocsparse_order_21rocsparse_index_base_b.has_recursion, 0
	.set _ZN9rocsparseL29bsrmm_general_blockdim_kernelILj32ELj32EliDF16_DF16_ffEEvb20rocsparse_direction_T2_S2_llNS_24const_host_device_scalarIT6_EEPKT1_PKS2_PKT3_S2_PKT4_llS5_PT5_ll16rocsparse_order_21rocsparse_index_base_b.has_indirect_call, 0
	.section	.AMDGPU.csdata,"",@progbits
; Kernel info:
; codeLenInByte = 1828
; TotalNumSgprs: 53
; NumVgprs: 46
; NumAgprs: 0
; TotalNumVgprs: 46
; ScratchSize: 0
; MemoryBound: 0
; FloatMode: 240
; IeeeMode: 1
; LDSByteSize: 8192 bytes/workgroup (compile time only)
; SGPRBlocks: 6
; VGPRBlocks: 5
; NumSGPRsForWavesPerEU: 53
; NumVGPRsForWavesPerEU: 46
; AccumOffset: 48
; Occupancy: 8
; WaveLimiterHint : 1
; COMPUTE_PGM_RSRC2:SCRATCH_EN: 0
; COMPUTE_PGM_RSRC2:USER_SGPR: 2
; COMPUTE_PGM_RSRC2:TRAP_HANDLER: 0
; COMPUTE_PGM_RSRC2:TGID_X_EN: 1
; COMPUTE_PGM_RSRC2:TGID_Y_EN: 1
; COMPUTE_PGM_RSRC2:TGID_Z_EN: 0
; COMPUTE_PGM_RSRC2:TIDIG_COMP_CNT: 1
; COMPUTE_PGM_RSRC3_GFX90A:ACCUM_OFFSET: 11
; COMPUTE_PGM_RSRC3_GFX90A:TG_SPLIT: 0
	.section	.text._ZN9rocsparseL29bsrmm_general_blockdim_kernelILj32ELj32EllDF16_DF16_ffEEvb20rocsparse_direction_T2_S2_llNS_24const_host_device_scalarIT6_EEPKT1_PKS2_PKT3_S2_PKT4_llS5_PT5_ll16rocsparse_order_21rocsparse_index_base_b,"axG",@progbits,_ZN9rocsparseL29bsrmm_general_blockdim_kernelILj32ELj32EllDF16_DF16_ffEEvb20rocsparse_direction_T2_S2_llNS_24const_host_device_scalarIT6_EEPKT1_PKS2_PKT3_S2_PKT4_llS5_PT5_ll16rocsparse_order_21rocsparse_index_base_b,comdat
	.globl	_ZN9rocsparseL29bsrmm_general_blockdim_kernelILj32ELj32EllDF16_DF16_ffEEvb20rocsparse_direction_T2_S2_llNS_24const_host_device_scalarIT6_EEPKT1_PKS2_PKT3_S2_PKT4_llS5_PT5_ll16rocsparse_order_21rocsparse_index_base_b ; -- Begin function _ZN9rocsparseL29bsrmm_general_blockdim_kernelILj32ELj32EllDF16_DF16_ffEEvb20rocsparse_direction_T2_S2_llNS_24const_host_device_scalarIT6_EEPKT1_PKS2_PKT3_S2_PKT4_llS5_PT5_ll16rocsparse_order_21rocsparse_index_base_b
	.p2align	8
	.type	_ZN9rocsparseL29bsrmm_general_blockdim_kernelILj32ELj32EllDF16_DF16_ffEEvb20rocsparse_direction_T2_S2_llNS_24const_host_device_scalarIT6_EEPKT1_PKS2_PKT3_S2_PKT4_llS5_PT5_ll16rocsparse_order_21rocsparse_index_base_b,@function
_ZN9rocsparseL29bsrmm_general_blockdim_kernelILj32ELj32EllDF16_DF16_ffEEvb20rocsparse_direction_T2_S2_llNS_24const_host_device_scalarIT6_EEPKT1_PKS2_PKT3_S2_PKT4_llS5_PT5_ll16rocsparse_order_21rocsparse_index_base_b: ; @_ZN9rocsparseL29bsrmm_general_blockdim_kernelILj32ELj32EllDF16_DF16_ffEEvb20rocsparse_direction_T2_S2_llNS_24const_host_device_scalarIT6_EEPKT1_PKS2_PKT3_S2_PKT4_llS5_PT5_ll16rocsparse_order_21rocsparse_index_base_b
; %bb.0:
	s_load_dwordx4 s[16:19], s[0:1], 0x88
	s_mov_b32 s6, s3
	s_waitcnt lgkmcnt(0)
	s_bitcmp1_b32 s18, 0
	s_load_dwordx2 s[18:19], s[0:1], 0x28
	s_load_dwordx2 s[28:29], s[0:1], 0x68
	s_cselect_b64 s[8:9], -1, 0
	s_xor_b64 s[4:5], s[8:9], -1
	s_and_b64 vcc, exec, s[8:9]
	s_cbranch_vccnz .LBB14_2
; %bb.1:
	s_waitcnt lgkmcnt(0)
	s_load_dword s18, s[18:19], 0x0
.LBB14_2:
	s_andn2_b64 vcc, exec, s[4:5]
	s_cbranch_vccnz .LBB14_4
; %bb.3:
	s_waitcnt lgkmcnt(0)
	s_load_dword s28, s[28:29], 0x0
.LBB14_4:
	s_waitcnt lgkmcnt(0)
	v_cmp_eq_f32_e64 s[4:5], s18, 0
	v_cmp_eq_f32_e64 s[8:9], s28, 1.0
	s_and_b64 s[4:5], s[4:5], s[8:9]
	s_and_b64 vcc, exec, s[4:5]
	s_cbranch_vccnz .LBB14_53
; %bb.5:
	s_load_dwordx4 s[20:23], s[0:1], 0x8
	s_load_dwordx2 s[8:9], s[0:1], 0x30
	s_ashr_i32 s3, s2, 31
	v_mov_b64_e32 v[2:3], s[2:3]
	s_mov_b64 s[30:31], 0
	s_waitcnt lgkmcnt(0)
	v_cmp_le_i64_e32 vcc, s[20:21], v[2:3]
	v_cmp_gt_i64_e64 s[4:5], s[20:21], v[2:3]
	s_mov_b64 s[20:21], 0
	s_cbranch_vccz .LBB14_8
; %bb.6:
	s_andn2_b64 vcc, exec, s[4:5]
	s_cbranch_vccz .LBB14_9
.LBB14_7:
	s_load_dwordx2 s[34:35], s[0:1], 0x48
	s_waitcnt lgkmcnt(0)
	v_cmp_lt_i64_e64 s[8:9], s[34:35], 1
	s_and_b64 vcc, exec, s[8:9]
	s_cbranch_vccz .LBB14_10
	s_branch .LBB14_53
.LBB14_8:
	s_lshl_b64 s[10:11], s[2:3], 3
	s_add_u32 s10, s8, s10
	s_addc_u32 s11, s9, s11
	s_load_dwordx2 s[10:11], s[10:11], 0x0
	s_waitcnt lgkmcnt(0)
	s_sub_u32 s30, s10, s17
	s_subb_u32 s31, s11, 0
	s_andn2_b64 vcc, exec, s[4:5]
	s_cbranch_vccnz .LBB14_7
.LBB14_9:
	s_lshl_b64 s[10:11], s[2:3], 3
	s_add_u32 s8, s8, s10
	s_addc_u32 s9, s9, s11
	s_load_dwordx2 s[8:9], s[8:9], 0x8
	s_waitcnt lgkmcnt(0)
	s_sub_u32 s20, s8, s17
	s_subb_u32 s21, s9, 0
	s_load_dwordx2 s[34:35], s[0:1], 0x48
	s_waitcnt lgkmcnt(0)
	v_cmp_lt_i64_e64 s[8:9], s[34:35], 1
	s_and_b64 vcc, exec, s[8:9]
	s_cbranch_vccnz .LBB14_53
.LBB14_10:
	s_load_dwordx4 s[8:11], s[0:1], 0x70
	s_load_dwordx4 s[24:27], s[0:1], 0x50
	s_load_dwordx4 s[12:15], s[0:1], 0x38
	s_load_dwordx2 s[38:39], s[0:1], 0x0
	v_bfe_u32 v2, v0, 10, 10
	v_lshl_add_u32 v14, s6, 5, v2
	s_mul_i32 s36, s34, s2
	v_mov_b32_e32 v15, 0
	s_waitcnt lgkmcnt(0)
	s_bitcmp1_b32 s38, 0
	s_cselect_b64 s[0:1], -1, 0
	s_xor_b64 s[6:7], s[0:1], -1
	s_mul_i32 s0, s35, s2
	s_mul_hi_u32 s1, s34, s2
	v_mad_u64_u32 v[6:7], s[2:3], s10, v14, 0
	v_mov_b32_e32 v8, v7
	v_mad_u64_u32 v[8:9], s[2:3], s11, v14, v[8:9]
	s_add_i32 s37, s1, s0
	v_mov_b32_e32 v7, v8
	v_mad_u64_u32 v[8:9], s[2:3], s26, v14, 0
	v_cmp_gt_i64_e64 s[0:1], s[22:23], v[14:15]
	s_cmp_lg_u32 s39, 0
	v_mov_b32_e32 v10, v9
	s_cselect_b64 s[22:23], -1, 0
	s_and_b64 s[38:39], s[4:5], s[0:1]
	v_mad_u64_u32 v[10:11], s[2:3], s27, v14, v[10:11]
	s_cmp_lg_u32 s16, 1
	s_mul_i32 s2, s30, s35
	s_mul_hi_u32 s3, s30, s34
	s_mov_b32 s19, s17
	s_cselect_b64 s[16:17], -1, 0
	s_add_i32 s2, s3, s2
	s_mul_i32 s3, s31, s34
	v_and_b32_e32 v0, 0x3ff, v0
	s_add_i32 s3, s2, s3
	s_mul_i32 s2, s30, s34
	v_lshlrev_b32_e32 v18, 1, v0
	v_mov_b32_e32 v19, v15
	s_lshl_b64 s[2:3], s[2:3], 1
	v_lshl_add_u64 v[4:5], v[14:15], 2, s[8:9]
	v_mov_b32_e32 v9, v10
	v_lshl_add_u64 v[10:11], v[14:15], 1, s[24:25]
	v_lshl_add_u64 v[12:13], s[2:3], 0, v[18:19]
	v_lshlrev_b32_e32 v14, 1, v2
	v_mul_lo_u32 v21, s34, v13
	v_mul_lo_u32 v22, s35, v12
	v_mad_u64_u32 v[12:13], s[4:5], s34, v12, v[14:15]
	v_mov_b32_e32 v1, v15
	v_mov_b64_e32 v[16:17], s[20:21]
	v_mov_b32_e32 v3, v15
	s_mul_i32 s4, s34, s35
	s_mul_hi_u32 s5, s34, s34
	v_lshl_add_u64 v[14:15], s[2:3], 0, v[14:15]
	v_lshlrev_b32_e32 v30, 2, v0
	v_add3_u32 v13, v22, v13, v21
	s_add_i32 s5, s5, s4
	v_mul_lo_u32 v21, s34, v15
	v_mul_lo_u32 v22, s35, v14
	v_mad_u64_u32 v[14:15], s[2:3], s34, v14, v[18:19]
	v_cmp_lt_i64_e32 vcc, s[30:31], v[16:17]
	v_or_b32_e32 v20, 0x1000, v30
	v_lshlrev_b32_e32 v31, 7, v2
	v_lshl_add_u64 v[8:9], v[8:9], 1, v[18:19]
	s_add_i32 s5, s5, s4
	s_mul_i32 s4, s34, s34
	v_add3_u32 v15, v22, v15, v21
	v_cndmask_b32_e64 v16, 0, 1, vcc
	v_cmp_neq_f32_e64 s[40:41], s28, 0
	v_lshl_add_u64 v[6:7], v[6:7], 2, s[8:9]
	v_lshl_add_u64 v[8:9], s[24:25], 0, v[8:9]
	s_lshl_b64 s[8:9], s[34:35], 1
	s_lshl_b64 s[24:25], s[26:27], 1
	;; [unrolled: 1-line block ×3, first 2 shown]
	v_lshl_add_u64 v[12:13], s[14:15], 0, v[12:13]
	s_lshl_b64 s[42:43], s[34:35], 6
	s_lshl_b64 s[44:45], s[4:5], 1
	v_lshl_add_u64 v[14:15], s[14:15], 0, v[14:15]
	s_mov_b64 s[14:15], 0
	v_cmp_ne_u32_e64 s[2:3], 1, v16
	v_add_u32_e32 v32, v20, v31
	s_branch .LBB14_12
.LBB14_11:                              ;   in Loop: Header=BB14_12 Depth=1
	s_or_b64 exec, exec, s[4:5]
	s_add_u32 s14, s14, 32
	s_addc_u32 s15, s15, 0
	v_mov_b64_e32 v[16:17], s[34:35]
	v_cmp_lt_i64_e32 vcc, s[14:15], v[16:17]
	v_lshl_add_u64 v[12:13], v[12:13], 0, s[42:43]
	v_lshl_add_u64 v[14:15], v[14:15], 0, 64
	s_cbranch_vccz .LBB14_53
.LBB14_12:                              ; =>This Loop Header: Depth=1
                                        ;     Child Loop BB14_15 Depth 2
                                        ;       Child Loop BB14_19 Depth 3
	v_lshl_add_u64 v[16:17], s[14:15], 0, v[0:1]
	s_and_b64 vcc, exec, s[2:3]
	v_cmp_gt_i64_e64 s[4:5], s[34:35], v[16:17]
	v_mov_b32_e32 v33, 0
	s_cbranch_vccnz .LBB14_41
; %bb.13:                               ;   in Loop: Header=BB14_12 Depth=1
	v_mov_b32_e32 v33, 0
	v_mov_b64_e32 v[18:19], v[14:15]
	v_mov_b64_e32 v[20:21], v[12:13]
	s_mov_b64 s[46:47], s[30:31]
	s_branch .LBB14_15
.LBB14_14:                              ;   in Loop: Header=BB14_15 Depth=2
	s_add_u32 s46, s46, 1
	s_addc_u32 s47, s47, 0
	v_mov_b64_e32 v[22:23], s[20:21]
	v_cmp_ge_i64_e32 vcc, s[46:47], v[22:23]
	v_lshl_add_u64 v[20:21], v[20:21], 0, s[44:45]
	v_lshl_add_u64 v[18:19], v[18:19], 0, s[44:45]
	s_cbranch_vccnz .LBB14_41
.LBB14_15:                              ;   Parent Loop BB14_12 Depth=1
                                        ; =>  This Loop Header: Depth=2
                                        ;       Child Loop BB14_19 Depth 3
	s_lshl_b64 s[48:49], s[46:47], 3
	s_add_u32 s48, s12, s48
	s_addc_u32 s49, s13, s49
	s_load_dwordx2 s[48:49], s[48:49], 0x0
	v_mov_b32_e32 v24, s34
	v_mov_b64_e32 v[28:29], v[20:21]
	s_waitcnt lgkmcnt(0)
	s_sub_u32 s29, s48, s19
	v_mov_b32_e32 v22, s29
	s_subb_u32 s33, s49, 0
	v_mad_u64_u32 v[22:23], s[48:49], s8, v22, v[8:9]
	s_mul_i32 s51, s8, s33
	s_mul_i32 s33, s33, s34
	;; [unrolled: 1-line block ×3, first 2 shown]
	s_add_i32 s33, s48, s33
	v_mad_u64_u32 v[24:25], s[48:49], s29, v24, v[0:1]
	s_mul_i32 s50, s9, s29
	v_add_u32_e32 v25, s33, v25
	s_add_i32 s51, s51, s50
	v_mul_lo_u32 v26, s24, v25
	v_mul_lo_u32 v27, s25, v24
	v_mad_u64_u32 v[24:25], s[48:49], s24, v24, v[10:11]
	v_add_u32_e32 v23, s51, v23
	v_add3_u32 v25, v27, v25, v26
	s_mov_b64 s[48:49], 0
	v_mov_b64_e32 v[26:27], v[18:19]
	s_branch .LBB14_19
.LBB14_16:                              ;   in Loop: Header=BB14_19 Depth=3
	s_or_b64 exec, exec, s[52:53]
.LBB14_17:                              ;   in Loop: Header=BB14_19 Depth=3
	s_or_b64 exec, exec, s[50:51]
.LBB14_18:                              ;   in Loop: Header=BB14_19 Depth=3
	v_add_u32_e32 v35, v30, v31
	ds_write_b32 v35, v34
	s_waitcnt lgkmcnt(0)
	s_barrier
	ds_read2_b32 v[50:51], v30 offset1:32
	ds_read_b128 v[34:37], v31 offset:4096
	ds_read_b128 v[38:41], v31 offset:4112
	ds_read2_b32 v[52:53], v30 offset0:64 offset1:96
	ds_read_b128 v[42:45], v31 offset:4128
	ds_read_b128 v[46:49], v31 offset:4144
	ds_read2_b32 v[54:55], v30 offset0:128 offset1:160
	s_waitcnt lgkmcnt(5)
	v_fmac_f32_e32 v33, v50, v34
	v_fmac_f32_e32 v33, v51, v35
	ds_read2_b32 v[34:35], v30 offset0:192 offset1:224
	s_waitcnt lgkmcnt(4)
	v_fmac_f32_e32 v33, v52, v36
	v_fmac_f32_e32 v33, v53, v37
	s_waitcnt lgkmcnt(1)
	v_fmac_f32_e32 v33, v54, v38
	v_add_u32_e32 v50, 0x400, v30
	ds_read2_b32 v[36:37], v50 offset1:32
	v_fmac_f32_e32 v33, v55, v39
	s_waitcnt lgkmcnt(1)
	v_fmac_f32_e32 v33, v34, v40
	v_fmac_f32_e32 v33, v35, v41
	ds_read2_b32 v[34:35], v50 offset0:64 offset1:96
	ds_read2_b32 v[38:39], v50 offset0:128 offset1:160
	s_waitcnt lgkmcnt(2)
	v_fmac_f32_e32 v33, v36, v42
	v_fmac_f32_e32 v33, v37, v43
	ds_read2_b32 v[40:41], v50 offset0:192 offset1:224
	s_waitcnt lgkmcnt(2)
	v_fmac_f32_e32 v33, v34, v44
	v_fmac_f32_e32 v33, v35, v45
	s_waitcnt lgkmcnt(1)
	v_fmac_f32_e32 v33, v38, v46
	v_fmac_f32_e32 v33, v39, v47
	s_waitcnt lgkmcnt(0)
	v_fmac_f32_e32 v33, v40, v48
	v_add_u32_e32 v48, 0x800, v30
	ds_read2_b32 v[42:43], v48 offset1:32
	ds_read_b128 v[34:37], v31 offset:4160
	v_fmac_f32_e32 v33, v41, v49
	ds_read2_b32 v[44:45], v48 offset0:64 offset1:96
	ds_read2_b32 v[46:47], v48 offset0:128 offset1:160
	ds_read_b128 v[38:41], v31 offset:4176
	s_add_u32 s48, s48, 32
	s_addc_u32 s49, s49, 0
	s_waitcnt lgkmcnt(3)
	v_fmac_f32_e32 v33, v42, v34
	v_fmac_f32_e32 v33, v43, v35
	ds_read2_b32 v[42:43], v48 offset0:192 offset1:224
	s_waitcnt lgkmcnt(3)
	v_fmac_f32_e32 v33, v44, v36
	v_fmac_f32_e32 v33, v45, v37
	v_add_u32_e32 v48, 0xc00, v30
	s_waitcnt lgkmcnt(1)
	v_fmac_f32_e32 v33, v46, v38
	ds_read2_b32 v[44:45], v48 offset1:32
	ds_read_b128 v[34:37], v31 offset:4192
	v_fmac_f32_e32 v33, v47, v39
	s_waitcnt lgkmcnt(2)
	v_fmac_f32_e32 v33, v42, v40
	v_fmac_f32_e32 v33, v43, v41
	ds_read2_b32 v[42:43], v48 offset0:64 offset1:96
	ds_read_b128 v[38:41], v31 offset:4208
	ds_read2_b32 v[46:47], v48 offset0:128 offset1:160
	s_waitcnt lgkmcnt(3)
	v_fmac_f32_e32 v33, v44, v34
	v_fmac_f32_e32 v33, v45, v35
	ds_read2_b32 v[34:35], v48 offset0:192 offset1:224
	s_waitcnt lgkmcnt(3)
	v_fmac_f32_e32 v33, v42, v36
	v_fmac_f32_e32 v33, v43, v37
	s_waitcnt lgkmcnt(1)
	v_fmac_f32_e32 v33, v46, v38
	v_fmac_f32_e32 v33, v47, v39
	;; [unrolled: 3-line block ×3, first 2 shown]
	v_mov_b64_e32 v[34:35], s[34:35]
	v_cmp_ge_i64_e32 vcc, s[48:49], v[34:35]
	v_lshl_add_u64 v[22:23], v[22:23], 0, 64
	v_lshl_add_u64 v[24:25], v[24:25], 0, s[26:27]
	;; [unrolled: 1-line block ×4, first 2 shown]
	s_barrier
	s_cbranch_vccnz .LBB14_14
.LBB14_19:                              ;   Parent Loop BB14_12 Depth=1
                                        ;     Parent Loop BB14_15 Depth=2
                                        ; =>    This Inner Loop Header: Depth=3
	s_mov_b64 s[50:51], -1
	s_and_b64 vcc, exec, s[6:7]
                                        ; implicit-def: $vgpr34
	s_cbranch_vccnz .LBB14_27
; %bb.20:                               ;   in Loop: Header=BB14_19 Depth=3
	s_andn2_b64 vcc, exec, s[50:51]
	s_cbranch_vccz .LBB14_32
.LBB14_21:                              ;   in Loop: Header=BB14_19 Depth=3
	s_and_b64 vcc, exec, s[22:23]
	ds_write_b32 v32, v34
	s_cbranch_vccz .LBB14_37
.LBB14_22:                              ;   in Loop: Header=BB14_19 Depth=3
	v_mov_b32_e32 v34, 0
	s_and_saveexec_b64 s[50:51], s[4:5]
	s_cbranch_execz .LBB14_26
; %bb.23:                               ;   in Loop: Header=BB14_19 Depth=3
	v_lshl_add_u64 v[34:35], v[2:3], 0, s[48:49]
	v_cmp_gt_i64_e32 vcc, s[34:35], v[34:35]
	v_mov_b32_e32 v34, 0
	s_and_saveexec_b64 s[52:53], vcc
	s_cbranch_execz .LBB14_25
; %bb.24:                               ;   in Loop: Header=BB14_19 Depth=3
	global_load_ushort v34, v[26:27], off
	s_waitcnt vmcnt(0)
	v_cvt_f32_f16_e32 v34, v34
.LBB14_25:                              ;   in Loop: Header=BB14_19 Depth=3
	s_or_b64 exec, exec, s[52:53]
.LBB14_26:                              ;   in Loop: Header=BB14_19 Depth=3
	s_or_b64 exec, exec, s[50:51]
	s_cbranch_execnz .LBB14_18
	s_branch .LBB14_38
.LBB14_27:                              ;   in Loop: Header=BB14_19 Depth=3
	v_mov_b32_e32 v34, 0
	s_and_saveexec_b64 s[50:51], s[0:1]
	s_cbranch_execz .LBB14_31
; %bb.28:                               ;   in Loop: Header=BB14_19 Depth=3
	v_lshl_add_u64 v[34:35], v[0:1], 0, s[48:49]
	v_cmp_gt_i64_e32 vcc, s[34:35], v[34:35]
	v_mov_b32_e32 v34, 0
	s_and_saveexec_b64 s[52:53], vcc
	s_cbranch_execz .LBB14_30
; %bb.29:                               ;   in Loop: Header=BB14_19 Depth=3
	global_load_ushort v34, v[24:25], off
	s_waitcnt vmcnt(0)
	v_cvt_f32_f16_e32 v34, v34
.LBB14_30:                              ;   in Loop: Header=BB14_19 Depth=3
	s_or_b64 exec, exec, s[52:53]
.LBB14_31:                              ;   in Loop: Header=BB14_19 Depth=3
	s_or_b64 exec, exec, s[50:51]
	s_cbranch_execnz .LBB14_21
.LBB14_32:                              ;   in Loop: Header=BB14_19 Depth=3
	v_mov_b32_e32 v34, 0
	s_and_saveexec_b64 s[50:51], s[0:1]
	s_cbranch_execz .LBB14_36
; %bb.33:                               ;   in Loop: Header=BB14_19 Depth=3
	v_lshl_add_u64 v[34:35], v[0:1], 0, s[48:49]
	v_cmp_gt_i64_e32 vcc, s[34:35], v[34:35]
	v_mov_b32_e32 v34, 0
	s_and_saveexec_b64 s[52:53], vcc
	s_cbranch_execz .LBB14_35
; %bb.34:                               ;   in Loop: Header=BB14_19 Depth=3
	global_load_ushort v34, v[22:23], off
	s_waitcnt vmcnt(0)
	v_cvt_f32_f16_e32 v34, v34
.LBB14_35:                              ;   in Loop: Header=BB14_19 Depth=3
	s_or_b64 exec, exec, s[52:53]
.LBB14_36:                              ;   in Loop: Header=BB14_19 Depth=3
	s_or_b64 exec, exec, s[50:51]
	s_and_b64 vcc, exec, s[22:23]
	ds_write_b32 v32, v34
	s_cbranch_vccnz .LBB14_22
.LBB14_37:                              ;   in Loop: Header=BB14_19 Depth=3
                                        ; implicit-def: $vgpr34
.LBB14_38:                              ;   in Loop: Header=BB14_19 Depth=3
	v_mov_b32_e32 v34, 0
	s_and_saveexec_b64 s[50:51], s[4:5]
	s_cbranch_execz .LBB14_17
; %bb.39:                               ;   in Loop: Header=BB14_19 Depth=3
	v_lshl_add_u64 v[34:35], v[2:3], 0, s[48:49]
	v_cmp_gt_i64_e32 vcc, s[34:35], v[34:35]
	v_mov_b32_e32 v34, 0
	s_and_saveexec_b64 s[52:53], vcc
	s_cbranch_execz .LBB14_16
; %bb.40:                               ;   in Loop: Header=BB14_19 Depth=3
	global_load_ushort v34, v[28:29], off
	s_waitcnt vmcnt(0)
	v_cvt_f32_f16_e32 v34, v34
	s_branch .LBB14_16
.LBB14_41:                              ;   in Loop: Header=BB14_12 Depth=1
	v_cmp_gt_i64_e32 vcc, s[34:35], v[16:17]
	s_and_b64 s[46:47], s[38:39], vcc
	s_and_saveexec_b64 s[4:5], s[46:47]
	s_cbranch_execz .LBB14_11
; %bb.42:                               ;   in Loop: Header=BB14_12 Depth=1
	v_lshl_add_u64 v[16:17], v[16:17], 0, s[36:37]
	s_mov_b64 s[46:47], -1
	s_and_b64 vcc, exec, s[40:41]
	s_cbranch_vccz .LBB14_48
; %bb.43:                               ;   in Loop: Header=BB14_12 Depth=1
	s_and_b64 vcc, exec, s[16:17]
	s_cbranch_vccz .LBB14_45
; %bb.44:                               ;   in Loop: Header=BB14_12 Depth=1
	v_mul_lo_u32 v20, v17, s10
	v_mul_lo_u32 v21, v16, s11
	v_mad_u64_u32 v[18:19], s[46:47], v16, s10, 0
	v_add3_u32 v19, v19, v21, v20
	v_lshl_add_u64 v[18:19], v[18:19], 2, v[4:5]
	global_load_dword v20, v[18:19], off
	v_mul_f32_e32 v21, s18, v33
	s_mov_b64 s[46:47], 0
	s_waitcnt vmcnt(0)
	v_fmac_f32_e32 v21, s28, v20
	global_store_dword v[18:19], v21, off
.LBB14_45:                              ;   in Loop: Header=BB14_12 Depth=1
	s_andn2_b64 vcc, exec, s[46:47]
	s_cbranch_vccnz .LBB14_47
; %bb.46:                               ;   in Loop: Header=BB14_12 Depth=1
	v_lshl_add_u64 v[18:19], v[16:17], 2, v[6:7]
	global_load_dword v20, v[18:19], off
	v_mul_f32_e32 v21, s18, v33
	s_waitcnt vmcnt(0)
	v_fmac_f32_e32 v21, s28, v20
	global_store_dword v[18:19], v21, off
.LBB14_47:                              ;   in Loop: Header=BB14_12 Depth=1
	s_mov_b64 s[46:47], 0
.LBB14_48:                              ;   in Loop: Header=BB14_12 Depth=1
	s_andn2_b64 vcc, exec, s[46:47]
	s_cbranch_vccnz .LBB14_11
; %bb.49:                               ;   in Loop: Header=BB14_12 Depth=1
	v_mul_f32_e32 v18, s18, v33
	s_mov_b64 s[46:47], -1
	s_and_b64 vcc, exec, s[16:17]
	s_cbranch_vccz .LBB14_51
; %bb.50:                               ;   in Loop: Header=BB14_12 Depth=1
	v_mul_lo_u32 v19, v17, s10
	v_mul_lo_u32 v22, v16, s11
	v_mad_u64_u32 v[20:21], s[46:47], v16, s10, 0
	v_add3_u32 v21, v21, v22, v19
	v_lshl_add_u64 v[20:21], v[20:21], 2, v[4:5]
	global_store_dword v[20:21], v18, off
	s_mov_b64 s[46:47], 0
.LBB14_51:                              ;   in Loop: Header=BB14_12 Depth=1
	s_andn2_b64 vcc, exec, s[46:47]
	s_cbranch_vccnz .LBB14_11
; %bb.52:                               ;   in Loop: Header=BB14_12 Depth=1
	v_lshl_add_u64 v[16:17], v[16:17], 2, v[6:7]
	global_store_dword v[16:17], v18, off
	s_branch .LBB14_11
.LBB14_53:
	s_endpgm
	.section	.rodata,"a",@progbits
	.p2align	6, 0x0
	.amdhsa_kernel _ZN9rocsparseL29bsrmm_general_blockdim_kernelILj32ELj32EllDF16_DF16_ffEEvb20rocsparse_direction_T2_S2_llNS_24const_host_device_scalarIT6_EEPKT1_PKS2_PKT3_S2_PKT4_llS5_PT5_ll16rocsparse_order_21rocsparse_index_base_b
		.amdhsa_group_segment_fixed_size 8192
		.amdhsa_private_segment_fixed_size 0
		.amdhsa_kernarg_size 148
		.amdhsa_user_sgpr_count 2
		.amdhsa_user_sgpr_dispatch_ptr 0
		.amdhsa_user_sgpr_queue_ptr 0
		.amdhsa_user_sgpr_kernarg_segment_ptr 1
		.amdhsa_user_sgpr_dispatch_id 0
		.amdhsa_user_sgpr_kernarg_preload_length 0
		.amdhsa_user_sgpr_kernarg_preload_offset 0
		.amdhsa_user_sgpr_private_segment_size 0
		.amdhsa_uses_dynamic_stack 0
		.amdhsa_enable_private_segment 0
		.amdhsa_system_sgpr_workgroup_id_x 1
		.amdhsa_system_sgpr_workgroup_id_y 1
		.amdhsa_system_sgpr_workgroup_id_z 0
		.amdhsa_system_sgpr_workgroup_info 0
		.amdhsa_system_vgpr_workitem_id 1
		.amdhsa_next_free_vgpr 56
		.amdhsa_next_free_sgpr 54
		.amdhsa_accum_offset 56
		.amdhsa_reserve_vcc 1
		.amdhsa_float_round_mode_32 0
		.amdhsa_float_round_mode_16_64 0
		.amdhsa_float_denorm_mode_32 3
		.amdhsa_float_denorm_mode_16_64 3
		.amdhsa_dx10_clamp 1
		.amdhsa_ieee_mode 1
		.amdhsa_fp16_overflow 0
		.amdhsa_tg_split 0
		.amdhsa_exception_fp_ieee_invalid_op 0
		.amdhsa_exception_fp_denorm_src 0
		.amdhsa_exception_fp_ieee_div_zero 0
		.amdhsa_exception_fp_ieee_overflow 0
		.amdhsa_exception_fp_ieee_underflow 0
		.amdhsa_exception_fp_ieee_inexact 0
		.amdhsa_exception_int_div_zero 0
	.end_amdhsa_kernel
	.section	.text._ZN9rocsparseL29bsrmm_general_blockdim_kernelILj32ELj32EllDF16_DF16_ffEEvb20rocsparse_direction_T2_S2_llNS_24const_host_device_scalarIT6_EEPKT1_PKS2_PKT3_S2_PKT4_llS5_PT5_ll16rocsparse_order_21rocsparse_index_base_b,"axG",@progbits,_ZN9rocsparseL29bsrmm_general_blockdim_kernelILj32ELj32EllDF16_DF16_ffEEvb20rocsparse_direction_T2_S2_llNS_24const_host_device_scalarIT6_EEPKT1_PKS2_PKT3_S2_PKT4_llS5_PT5_ll16rocsparse_order_21rocsparse_index_base_b,comdat
.Lfunc_end14:
	.size	_ZN9rocsparseL29bsrmm_general_blockdim_kernelILj32ELj32EllDF16_DF16_ffEEvb20rocsparse_direction_T2_S2_llNS_24const_host_device_scalarIT6_EEPKT1_PKS2_PKT3_S2_PKT4_llS5_PT5_ll16rocsparse_order_21rocsparse_index_base_b, .Lfunc_end14-_ZN9rocsparseL29bsrmm_general_blockdim_kernelILj32ELj32EllDF16_DF16_ffEEvb20rocsparse_direction_T2_S2_llNS_24const_host_device_scalarIT6_EEPKT1_PKS2_PKT3_S2_PKT4_llS5_PT5_ll16rocsparse_order_21rocsparse_index_base_b
                                        ; -- End function
	.set _ZN9rocsparseL29bsrmm_general_blockdim_kernelILj32ELj32EllDF16_DF16_ffEEvb20rocsparse_direction_T2_S2_llNS_24const_host_device_scalarIT6_EEPKT1_PKS2_PKT3_S2_PKT4_llS5_PT5_ll16rocsparse_order_21rocsparse_index_base_b.num_vgpr, 56
	.set _ZN9rocsparseL29bsrmm_general_blockdim_kernelILj32ELj32EllDF16_DF16_ffEEvb20rocsparse_direction_T2_S2_llNS_24const_host_device_scalarIT6_EEPKT1_PKS2_PKT3_S2_PKT4_llS5_PT5_ll16rocsparse_order_21rocsparse_index_base_b.num_agpr, 0
	.set _ZN9rocsparseL29bsrmm_general_blockdim_kernelILj32ELj32EllDF16_DF16_ffEEvb20rocsparse_direction_T2_S2_llNS_24const_host_device_scalarIT6_EEPKT1_PKS2_PKT3_S2_PKT4_llS5_PT5_ll16rocsparse_order_21rocsparse_index_base_b.numbered_sgpr, 54
	.set _ZN9rocsparseL29bsrmm_general_blockdim_kernelILj32ELj32EllDF16_DF16_ffEEvb20rocsparse_direction_T2_S2_llNS_24const_host_device_scalarIT6_EEPKT1_PKS2_PKT3_S2_PKT4_llS5_PT5_ll16rocsparse_order_21rocsparse_index_base_b.num_named_barrier, 0
	.set _ZN9rocsparseL29bsrmm_general_blockdim_kernelILj32ELj32EllDF16_DF16_ffEEvb20rocsparse_direction_T2_S2_llNS_24const_host_device_scalarIT6_EEPKT1_PKS2_PKT3_S2_PKT4_llS5_PT5_ll16rocsparse_order_21rocsparse_index_base_b.private_seg_size, 0
	.set _ZN9rocsparseL29bsrmm_general_blockdim_kernelILj32ELj32EllDF16_DF16_ffEEvb20rocsparse_direction_T2_S2_llNS_24const_host_device_scalarIT6_EEPKT1_PKS2_PKT3_S2_PKT4_llS5_PT5_ll16rocsparse_order_21rocsparse_index_base_b.uses_vcc, 1
	.set _ZN9rocsparseL29bsrmm_general_blockdim_kernelILj32ELj32EllDF16_DF16_ffEEvb20rocsparse_direction_T2_S2_llNS_24const_host_device_scalarIT6_EEPKT1_PKS2_PKT3_S2_PKT4_llS5_PT5_ll16rocsparse_order_21rocsparse_index_base_b.uses_flat_scratch, 0
	.set _ZN9rocsparseL29bsrmm_general_blockdim_kernelILj32ELj32EllDF16_DF16_ffEEvb20rocsparse_direction_T2_S2_llNS_24const_host_device_scalarIT6_EEPKT1_PKS2_PKT3_S2_PKT4_llS5_PT5_ll16rocsparse_order_21rocsparse_index_base_b.has_dyn_sized_stack, 0
	.set _ZN9rocsparseL29bsrmm_general_blockdim_kernelILj32ELj32EllDF16_DF16_ffEEvb20rocsparse_direction_T2_S2_llNS_24const_host_device_scalarIT6_EEPKT1_PKS2_PKT3_S2_PKT4_llS5_PT5_ll16rocsparse_order_21rocsparse_index_base_b.has_recursion, 0
	.set _ZN9rocsparseL29bsrmm_general_blockdim_kernelILj32ELj32EllDF16_DF16_ffEEvb20rocsparse_direction_T2_S2_llNS_24const_host_device_scalarIT6_EEPKT1_PKS2_PKT3_S2_PKT4_llS5_PT5_ll16rocsparse_order_21rocsparse_index_base_b.has_indirect_call, 0
	.section	.AMDGPU.csdata,"",@progbits
; Kernel info:
; codeLenInByte = 2088
; TotalNumSgprs: 60
; NumVgprs: 56
; NumAgprs: 0
; TotalNumVgprs: 56
; ScratchSize: 0
; MemoryBound: 0
; FloatMode: 240
; IeeeMode: 1
; LDSByteSize: 8192 bytes/workgroup (compile time only)
; SGPRBlocks: 7
; VGPRBlocks: 6
; NumSGPRsForWavesPerEU: 60
; NumVGPRsForWavesPerEU: 56
; AccumOffset: 56
; Occupancy: 8
; WaveLimiterHint : 1
; COMPUTE_PGM_RSRC2:SCRATCH_EN: 0
; COMPUTE_PGM_RSRC2:USER_SGPR: 2
; COMPUTE_PGM_RSRC2:TRAP_HANDLER: 0
; COMPUTE_PGM_RSRC2:TGID_X_EN: 1
; COMPUTE_PGM_RSRC2:TGID_Y_EN: 1
; COMPUTE_PGM_RSRC2:TGID_Z_EN: 0
; COMPUTE_PGM_RSRC2:TIDIG_COMP_CNT: 1
; COMPUTE_PGM_RSRC3_GFX90A:ACCUM_OFFSET: 13
; COMPUTE_PGM_RSRC3_GFX90A:TG_SPLIT: 0
	.section	.text._ZN9rocsparseL29bsrmm_general_blockdim_kernelILj32ELj32EiiaaiiEEvb20rocsparse_direction_T2_S2_llNS_24const_host_device_scalarIT6_EEPKT1_PKS2_PKT3_S2_PKT4_llS5_PT5_ll16rocsparse_order_21rocsparse_index_base_b,"axG",@progbits,_ZN9rocsparseL29bsrmm_general_blockdim_kernelILj32ELj32EiiaaiiEEvb20rocsparse_direction_T2_S2_llNS_24const_host_device_scalarIT6_EEPKT1_PKS2_PKT3_S2_PKT4_llS5_PT5_ll16rocsparse_order_21rocsparse_index_base_b,comdat
	.globl	_ZN9rocsparseL29bsrmm_general_blockdim_kernelILj32ELj32EiiaaiiEEvb20rocsparse_direction_T2_S2_llNS_24const_host_device_scalarIT6_EEPKT1_PKS2_PKT3_S2_PKT4_llS5_PT5_ll16rocsparse_order_21rocsparse_index_base_b ; -- Begin function _ZN9rocsparseL29bsrmm_general_blockdim_kernelILj32ELj32EiiaaiiEEvb20rocsparse_direction_T2_S2_llNS_24const_host_device_scalarIT6_EEPKT1_PKS2_PKT3_S2_PKT4_llS5_PT5_ll16rocsparse_order_21rocsparse_index_base_b
	.p2align	8
	.type	_ZN9rocsparseL29bsrmm_general_blockdim_kernelILj32ELj32EiiaaiiEEvb20rocsparse_direction_T2_S2_llNS_24const_host_device_scalarIT6_EEPKT1_PKS2_PKT3_S2_PKT4_llS5_PT5_ll16rocsparse_order_21rocsparse_index_base_b,@function
_ZN9rocsparseL29bsrmm_general_blockdim_kernelILj32ELj32EiiaaiiEEvb20rocsparse_direction_T2_S2_llNS_24const_host_device_scalarIT6_EEPKT1_PKS2_PKT3_S2_PKT4_llS5_PT5_ll16rocsparse_order_21rocsparse_index_base_b: ; @_ZN9rocsparseL29bsrmm_general_blockdim_kernelILj32ELj32EiiaaiiEEvb20rocsparse_direction_T2_S2_llNS_24const_host_device_scalarIT6_EEPKT1_PKS2_PKT3_S2_PKT4_llS5_PT5_ll16rocsparse_order_21rocsparse_index_base_b
; %bb.0:
	s_load_dwordx4 s[8:11], s[0:1], 0x80
	s_load_dwordx2 s[12:13], s[0:1], 0x20
	s_mov_b32 s4, s3
	s_mov_b64 s[14:15], -1
                                        ; implicit-def: $sgpr33
	s_waitcnt lgkmcnt(0)
	s_bitcmp1_b32 s10, 0
	s_cselect_b64 s[6:7], -1, 0
	s_xor_b64 s[10:11], s[6:7], -1
	s_and_b64 vcc, exec, s[10:11]
	s_cbranch_vccnz .LBB15_4
; %bb.1:
	s_load_dwordx2 s[6:7], s[0:1], 0x60
	s_andn2_b64 vcc, exec, s[14:15]
	s_cbranch_vccz .LBB15_5
.LBB15_2:
	s_and_b64 vcc, exec, s[10:11]
	s_cbranch_vccz .LBB15_6
.LBB15_3:
	s_waitcnt lgkmcnt(0)
	s_load_dword s38, s[6:7], 0x0
	s_cbranch_execz .LBB15_7
	s_branch .LBB15_8
.LBB15_4:
	s_load_dword s33, s[12:13], 0x0
	s_load_dwordx2 s[6:7], s[0:1], 0x60
	s_cbranch_execnz .LBB15_2
.LBB15_5:
	s_waitcnt lgkmcnt(0)
	s_mov_b32 s33, s12
	s_and_b64 vcc, exec, s[10:11]
	s_cbranch_vccnz .LBB15_3
.LBB15_6:
                                        ; implicit-def: $sgpr38
.LBB15_7:
	s_waitcnt lgkmcnt(0)
	s_mov_b32 s38, s6
.LBB15_8:
	s_waitcnt lgkmcnt(0)
	s_cmp_eq_u32 s33, 0
	s_cselect_b64 s[6:7], -1, 0
	s_cmp_eq_u32 s38, 1
	s_cselect_b64 s[10:11], -1, 0
	s_and_b64 s[6:7], s[6:7], s[10:11]
	s_mov_b32 s39, 0
	s_and_b64 vcc, exec, s[6:7]
	s_cbranch_vccnz .LBB15_59
; %bb.9:
	s_load_dwordx4 s[24:27], s[0:1], 0x0
	s_load_dwordx2 s[6:7], s[0:1], 0x28
	s_waitcnt lgkmcnt(0)
	s_cmp_lt_i32 s2, s26
	s_cselect_b64 s[28:29], -1, 0
	s_cmp_ge_i32 s2, s26
	s_cbranch_scc0 .LBB15_12
; %bb.10:
	s_andn2_b64 vcc, exec, s[28:29]
	s_mov_b32 s40, 0
	s_cbranch_vccz .LBB15_13
.LBB15_11:
	s_load_dword s41, s[0:1], 0x40
	s_waitcnt lgkmcnt(0)
	s_cmp_lt_i32 s41, 1
	s_cbranch_scc0 .LBB15_14
	s_branch .LBB15_59
.LBB15_12:
	s_ashr_i32 s3, s2, 31
	s_lshl_b64 s[10:11], s[2:3], 2
	s_add_u32 s10, s6, s10
	s_addc_u32 s11, s7, s11
	s_load_dword s3, s[10:11], 0x0
	s_waitcnt lgkmcnt(0)
	s_sub_i32 s39, s3, s9
	s_andn2_b64 vcc, exec, s[28:29]
	s_mov_b32 s40, 0
	s_cbranch_vccnz .LBB15_11
.LBB15_13:
	s_ashr_i32 s3, s2, 31
	s_lshl_b64 s[10:11], s[2:3], 2
	s_add_u32 s6, s6, s10
	s_addc_u32 s7, s7, s11
	s_load_dword s3, s[6:7], 0x4
	s_waitcnt lgkmcnt(0)
	s_sub_i32 s40, s3, s9
	s_load_dword s41, s[0:1], 0x40
	s_waitcnt lgkmcnt(0)
	s_cmp_lt_i32 s41, 1
	s_cbranch_scc1 .LBB15_59
.LBB15_14:
	s_load_dwordx4 s[12:15], s[0:1], 0x68
	s_load_dwordx4 s[16:19], s[0:1], 0x30
	s_load_dwordx4 s[20:23], s[0:1], 0x48
	v_and_b32_e32 v1, 0x3ff, v0
	v_bfe_u32 v0, v0, 10, 10
	s_bitcmp1_b32 s24, 0
	v_lshl_add_u32 v8, s4, 5, v0
	s_cselect_b64 s[0:1], -1, 0
	v_ashrrev_i32_e32 v9, 31, v8
	s_waitcnt lgkmcnt(0)
	v_mov_b64_e32 v[4:5], s[20:21]
	s_xor_b64 s[6:7], s[0:1], -1
	v_mul_lo_u32 v6, s22, v9
	v_mul_lo_u32 v7, s23, v8
	v_mad_u64_u32 v[4:5], s[4:5], s22, v8, v[4:5]
	s_cmp_lt_i32 s39, s40
	v_cmp_gt_i32_e64 s[0:1], s27, v8
	v_lshl_add_u64 v[2:3], s[20:21], 0, v[8:9]
	v_add3_u32 v5, v7, v5, v6
	v_lshl_add_u64 v[6:7], v[8:9], 2, s[12:13]
	v_mul_lo_u32 v10, s14, v9
	v_mul_lo_u32 v11, s15, v8
	v_mad_u64_u32 v[8:9], s[4:5], s14, v8, 0
	s_mul_i32 s42, s41, s2
	s_cselect_b64 s[2:3], -1, 0
	s_cmp_lg_u32 s25, 0
	s_mul_i32 s4, s39, s41
	s_cselect_b64 s[10:11], -1, 0
	s_and_b64 s[20:21], s[28:29], s[0:1]
	v_add3_u32 v9, v9, v10, v11
	v_add_u32_e32 v10, s4, v1
	v_lshlrev_b32_e32 v16, 2, v1
	s_cmp_lg_u32 s38, 0
	v_mad_u64_u32 v[10:11], s[4:5], s41, v10, v[0:1]
	v_or_b32_e32 v12, 0x1000, v16
	v_lshlrev_b32_e32 v17, 7, v0
	s_cselect_b64 s[24:25], -1, 0
	s_cmp_lg_u32 s8, 1
	v_cndmask_b32_e64 v11, 0, 1, s[2:3]
	s_mov_b32 s43, 0
	s_cselect_b64 s[26:27], -1, 0
	v_lshl_add_u64 v[8:9], v[8:9], 2, s[12:13]
	s_lshl_b32 s8, s41, 5
	s_mul_i32 s44, s41, s41
	v_cmp_ne_u32_e64 s[2:3], 1, v11
	v_add_u32_e32 v11, v12, v17
	v_add_u32_e32 v18, v16, v17
	;; [unrolled: 1-line block ×5, first 2 shown]
	s_branch .LBB15_16
.LBB15_15:                              ;   in Loop: Header=BB15_16 Depth=1
	s_or_b64 exec, exec, s[4:5]
	s_add_i32 s43, s43, 32
	s_cmp_lt_i32 s43, s41
	v_add_u32_e32 v10, s8, v10
	s_cbranch_scc0 .LBB15_59
.LBB15_16:                              ; =>This Loop Header: Depth=1
                                        ;     Child Loop BB15_19 Depth 2
                                        ;       Child Loop BB15_21 Depth 3
	v_add_u32_e32 v12, s43, v1
	v_mov_b32_e32 v22, 0
	s_and_b64 vcc, exec, s[2:3]
	v_cmp_gt_i32_e64 s[4:5], s41, v12
	s_cbranch_vccnz .LBB15_47
; %bb.17:                               ;   in Loop: Header=BB15_16 Depth=1
	v_mov_b32_e32 v22, 0
	v_mov_b32_e32 v13, v10
	s_mov_b32 s12, s39
	s_branch .LBB15_19
.LBB15_18:                              ;   in Loop: Header=BB15_19 Depth=2
	s_add_i32 s12, s12, 1
	s_cmp_ge_i32 s12, s40
	v_add_u32_e32 v13, s44, v13
	s_cbranch_scc1 .LBB15_47
.LBB15_19:                              ;   Parent Loop BB15_16 Depth=1
                                        ; =>  This Loop Header: Depth=2
                                        ;       Child Loop BB15_21 Depth 3
	s_ashr_i32 s13, s12, 31
	s_lshl_b64 s[28:29], s[12:13], 2
	s_add_u32 s28, s16, s28
	s_addc_u32 s29, s17, s29
	s_load_dword s28, s[28:29], 0x0
	s_mul_i32 s13, s12, s41
	s_mov_b32 s45, 0
	s_waitcnt lgkmcnt(0)
	s_sub_i32 s28, s28, s9
	s_mul_i32 s28, s28, s41
	v_add_u32_e32 v23, s28, v1
	s_branch .LBB15_21
.LBB15_20:                              ;   in Loop: Header=BB15_21 Depth=3
	s_or_b64 exec, exec, s[30:31]
	s_waitcnt vmcnt(0)
	ds_write_b32 v18, v15
	s_waitcnt lgkmcnt(0)
	s_barrier
	ds_read2_b32 v[14:15], v16 offset1:32
	ds_read_b128 v[24:27], v17 offset:4096
	ds_read_b128 v[28:31], v17 offset:4112
	;; [unrolled: 1-line block ×4, first 2 shown]
	ds_read2_b32 v[40:41], v16 offset0:64 offset1:96
	s_waitcnt lgkmcnt(4)
	v_mul_lo_u32 v14, v24, v14
	v_mul_lo_u32 v15, v25, v15
	v_add3_u32 v22, v14, v22, v15
	ds_read2_b32 v[14:15], v16 offset0:128 offset1:160
	s_waitcnt lgkmcnt(1)
	v_mul_lo_u32 v24, v26, v40
	v_mul_lo_u32 v25, v27, v41
	v_add3_u32 v22, v22, v24, v25
	;; [unrolled: 5-line block ×3, first 2 shown]
	ds_read2_b32 v[14:15], v19 offset1:32
	s_waitcnt lgkmcnt(1)
	v_mul_lo_u32 v24, v30, v24
	v_mul_lo_u32 v25, v31, v25
	v_add3_u32 v22, v22, v24, v25
	ds_read2_b32 v[24:25], v19 offset0:64 offset1:96
	s_waitcnt lgkmcnt(1)
	v_mul_lo_u32 v14, v32, v14
	v_mul_lo_u32 v15, v33, v15
	v_add3_u32 v22, v22, v14, v15
	ds_read2_b32 v[14:15], v19 offset0:128 offset1:160
	s_waitcnt lgkmcnt(1)
	v_mul_lo_u32 v24, v34, v24
	v_mul_lo_u32 v25, v35, v25
	ds_read2_b32 v[28:29], v19 offset0:192 offset1:224
	v_add3_u32 v22, v22, v24, v25
	s_waitcnt lgkmcnt(1)
	v_mul_lo_u32 v14, v36, v14
	v_mul_lo_u32 v15, v37, v15
	v_add3_u32 v22, v22, v14, v15
	ds_read2_b32 v[14:15], v20 offset1:32
	ds_read_b128 v[24:27], v17 offset:4160
	s_waitcnt lgkmcnt(2)
	v_mul_lo_u32 v28, v38, v28
	v_mul_lo_u32 v29, v39, v29
	v_add3_u32 v22, v22, v28, v29
	ds_read2_b32 v[32:33], v20 offset0:64 offset1:96
	ds_read_b128 v[28:31], v17 offset:4176
	s_waitcnt lgkmcnt(2)
	v_mul_lo_u32 v14, v24, v14
	v_mul_lo_u32 v15, v25, v15
	v_add3_u32 v22, v22, v14, v15
	ds_read2_b32 v[14:15], v20 offset0:128 offset1:160
	s_waitcnt lgkmcnt(2)
	v_mul_lo_u32 v24, v26, v32
	v_mul_lo_u32 v25, v27, v33
	ds_read2_b32 v[32:33], v20 offset0:192 offset1:224
	v_add3_u32 v22, v22, v24, v25
	s_waitcnt lgkmcnt(1)
	v_mul_lo_u32 v15, v29, v15
	v_mul_lo_u32 v14, v28, v14
	v_add3_u32 v22, v22, v14, v15
	ds_read2_b32 v[14:15], v21 offset1:32
	ds_read_b128 v[24:27], v17 offset:4192
	s_waitcnt lgkmcnt(2)
	v_mul_lo_u32 v28, v31, v33
	v_mul_lo_u32 v29, v30, v32
	v_add3_u32 v22, v22, v29, v28
	ds_read2_b32 v[32:33], v21 offset0:64 offset1:96
	ds_read_b128 v[28:31], v17 offset:4208
	s_waitcnt lgkmcnt(2)
	v_mul_lo_u32 v15, v25, v15
	v_mul_lo_u32 v14, v24, v14
	v_add3_u32 v22, v22, v14, v15
	ds_read2_b32 v[14:15], v21 offset0:128 offset1:160
	ds_read2_b32 v[24:25], v21 offset0:192 offset1:224
	s_waitcnt lgkmcnt(3)
	v_mul_lo_u32 v27, v27, v33
	v_mul_lo_u32 v26, v26, v32
	v_add3_u32 v22, v22, v26, v27
	s_waitcnt lgkmcnt(1)
	v_mul_lo_u32 v15, v29, v15
	v_mul_lo_u32 v14, v28, v14
	v_add3_u32 v14, v22, v14, v15
	s_waitcnt lgkmcnt(0)
	v_mul_lo_u32 v15, v31, v25
	v_mul_lo_u32 v22, v30, v24
	s_add_i32 s45, s45, 32
	v_add3_u32 v22, v14, v22, v15
	s_cmp_ge_i32 s45, s41
	s_barrier
	s_cbranch_scc1 .LBB15_18
.LBB15_21:                              ;   Parent Loop BB15_16 Depth=1
                                        ;     Parent Loop BB15_19 Depth=2
                                        ; =>    This Inner Loop Header: Depth=3
	s_mov_b64 s[28:29], -1
	s_and_b64 vcc, exec, s[6:7]
                                        ; implicit-def: $vgpr14
	s_cbranch_vccnz .LBB15_30
; %bb.22:                               ;   in Loop: Header=BB15_21 Depth=3
	s_andn2_b64 vcc, exec, s[28:29]
	s_cbranch_vccz .LBB15_35
.LBB15_23:                              ;   in Loop: Header=BB15_21 Depth=3
	s_and_b64 vcc, exec, s[10:11]
	s_waitcnt vmcnt(0)
	ds_write_b32 v11, v14
	s_cbranch_vccz .LBB15_40
.LBB15_24:                              ;   in Loop: Header=BB15_21 Depth=3
	s_mov_b64 s[30:31], 0
	s_mov_b64 s[28:29], 0
                                        ; implicit-def: $vgpr14
	s_and_saveexec_b64 s[34:35], s[4:5]
	s_cbranch_execz .LBB15_28
; %bb.25:                               ;   in Loop: Header=BB15_21 Depth=3
	v_add_u32_e32 v15, s45, v0
	v_cmp_gt_i32_e32 vcc, s41, v15
                                        ; implicit-def: $vgpr14
	s_and_saveexec_b64 s[36:37], vcc
	s_xor_b64 s[36:37], exec, s[36:37]
; %bb.26:                               ;   in Loop: Header=BB15_21 Depth=3
	v_add_u32_e32 v14, s13, v15
	s_mov_b64 s[28:29], exec
	v_mad_u64_u32 v[14:15], s[46:47], v14, s41, v[12:13]
; %bb.27:                               ;   in Loop: Header=BB15_21 Depth=3
	s_or_b64 exec, exec, s[36:37]
	s_and_b64 s[28:29], s[28:29], exec
.LBB15_28:                              ;   in Loop: Header=BB15_21 Depth=3
	s_or_b64 exec, exec, s[34:35]
	s_and_b64 vcc, exec, s[30:31]
	s_cbranch_vccnz .LBB15_41
.LBB15_29:                              ;   in Loop: Header=BB15_21 Depth=3
	v_mov_b32_e32 v15, 0
	s_and_saveexec_b64 s[30:31], s[28:29]
	s_cbranch_execz .LBB15_20
	s_branch .LBB15_46
.LBB15_30:                              ;   in Loop: Header=BB15_21 Depth=3
	v_mov_b32_e32 v14, 0
	s_and_saveexec_b64 s[28:29], s[0:1]
	s_cbranch_execz .LBB15_34
; %bb.31:                               ;   in Loop: Header=BB15_21 Depth=3
	v_add_u32_e32 v14, s45, v1
	v_cmp_gt_i32_e32 vcc, s41, v14
	v_mov_b32_e32 v14, 0
	s_and_saveexec_b64 s[30:31], vcc
	s_cbranch_execz .LBB15_33
; %bb.32:                               ;   in Loop: Header=BB15_21 Depth=3
	v_add_u32_e32 v14, s45, v23
	v_ashrrev_i32_e32 v15, 31, v14
	v_mul_lo_u32 v24, s22, v15
	v_mul_lo_u32 v25, s23, v14
	v_mad_u64_u32 v[14:15], s[34:35], s22, v14, v[2:3]
	v_add3_u32 v15, v25, v15, v24
	global_load_sbyte v14, v[14:15], off
.LBB15_33:                              ;   in Loop: Header=BB15_21 Depth=3
	s_or_b64 exec, exec, s[30:31]
.LBB15_34:                              ;   in Loop: Header=BB15_21 Depth=3
	s_or_b64 exec, exec, s[28:29]
	s_cbranch_execnz .LBB15_23
.LBB15_35:                              ;   in Loop: Header=BB15_21 Depth=3
	s_waitcnt vmcnt(0)
	v_mov_b32_e32 v14, 0
	s_and_saveexec_b64 s[28:29], s[0:1]
	s_cbranch_execz .LBB15_39
; %bb.36:                               ;   in Loop: Header=BB15_21 Depth=3
	v_add_u32_e32 v14, s45, v1
	v_cmp_gt_i32_e32 vcc, s41, v14
	v_mov_b32_e32 v14, 0
	s_and_saveexec_b64 s[30:31], vcc
	s_cbranch_execz .LBB15_38
; %bb.37:                               ;   in Loop: Header=BB15_21 Depth=3
	v_add_u32_e32 v14, s45, v23
	v_ashrrev_i32_e32 v15, 31, v14
	v_lshl_add_u64 v[14:15], v[4:5], 0, v[14:15]
	global_load_sbyte v14, v[14:15], off
.LBB15_38:                              ;   in Loop: Header=BB15_21 Depth=3
	s_or_b64 exec, exec, s[30:31]
.LBB15_39:                              ;   in Loop: Header=BB15_21 Depth=3
	s_or_b64 exec, exec, s[28:29]
	s_and_b64 vcc, exec, s[10:11]
	s_waitcnt vmcnt(0)
	ds_write_b32 v11, v14
	s_cbranch_vccnz .LBB15_24
.LBB15_40:                              ;   in Loop: Header=BB15_21 Depth=3
	s_mov_b64 s[28:29], 0
                                        ; implicit-def: $vgpr14
	s_cbranch_execz .LBB15_29
.LBB15_41:                              ;   in Loop: Header=BB15_21 Depth=3
                                        ; implicit-def: $vgpr14
	s_and_saveexec_b64 s[30:31], s[4:5]
	s_cbranch_execz .LBB15_45
; %bb.42:                               ;   in Loop: Header=BB15_21 Depth=3
	v_add_u32_e32 v14, s45, v0
	v_cmp_gt_i32_e32 vcc, s41, v14
	s_mov_b64 s[34:35], s[28:29]
                                        ; implicit-def: $vgpr14
	s_and_saveexec_b64 s[36:37], vcc
; %bb.43:                               ;   in Loop: Header=BB15_21 Depth=3
	v_add_u32_e32 v14, s45, v13
	s_or_b64 s[34:35], s[28:29], exec
; %bb.44:                               ;   in Loop: Header=BB15_21 Depth=3
	s_or_b64 exec, exec, s[36:37]
	s_andn2_b64 s[28:29], s[28:29], exec
	s_and_b64 s[34:35], s[34:35], exec
	s_or_b64 s[28:29], s[28:29], s[34:35]
.LBB15_45:                              ;   in Loop: Header=BB15_21 Depth=3
	s_or_b64 exec, exec, s[30:31]
	v_mov_b32_e32 v15, 0
	s_and_saveexec_b64 s[30:31], s[28:29]
	s_cbranch_execz .LBB15_20
.LBB15_46:                              ;   in Loop: Header=BB15_21 Depth=3
	v_ashrrev_i32_e32 v15, 31, v14
	v_lshl_add_u64 v[14:15], s[18:19], 0, v[14:15]
	global_load_sbyte v15, v[14:15], off
	s_branch .LBB15_20
.LBB15_47:                              ;   in Loop: Header=BB15_16 Depth=1
	v_cmp_gt_i32_e32 vcc, s41, v12
	s_and_b64 s[12:13], s[20:21], vcc
	s_and_saveexec_b64 s[4:5], s[12:13]
	s_cbranch_execz .LBB15_15
; %bb.48:                               ;   in Loop: Header=BB15_16 Depth=1
	v_add_u32_e32 v12, s42, v12
	s_and_b64 vcc, exec, s[24:25]
	v_ashrrev_i32_e32 v13, 31, v12
	s_mov_b64 s[12:13], -1
	s_cbranch_vccz .LBB15_54
; %bb.49:                               ;   in Loop: Header=BB15_16 Depth=1
	s_and_b64 vcc, exec, s[26:27]
	s_cbranch_vccz .LBB15_51
; %bb.50:                               ;   in Loop: Header=BB15_16 Depth=1
	v_mul_lo_u32 v23, s15, v12
	v_mul_lo_u32 v24, s14, v13
	v_mad_u64_u32 v[14:15], s[12:13], s14, v12, 0
	v_add3_u32 v15, v15, v24, v23
	v_lshl_add_u64 v[14:15], v[14:15], 2, v[6:7]
	global_load_dword v23, v[14:15], off
	v_mul_lo_u32 v24, v22, s33
	s_waitcnt vmcnt(0)
	v_mad_u64_u32 v[24:25], s[12:13], v23, s38, v[24:25]
	global_store_dword v[14:15], v24, off
	s_mov_b64 s[12:13], 0
.LBB15_51:                              ;   in Loop: Header=BB15_16 Depth=1
	s_andn2_b64 vcc, exec, s[12:13]
	s_cbranch_vccnz .LBB15_53
; %bb.52:                               ;   in Loop: Header=BB15_16 Depth=1
	v_lshl_add_u64 v[14:15], v[12:13], 2, v[8:9]
	global_load_dword v23, v[14:15], off
	v_mul_lo_u32 v24, v22, s33
	s_waitcnt vmcnt(0)
	v_mad_u64_u32 v[24:25], s[12:13], v23, s38, v[24:25]
	global_store_dword v[14:15], v24, off
.LBB15_53:                              ;   in Loop: Header=BB15_16 Depth=1
	s_mov_b64 s[12:13], 0
.LBB15_54:                              ;   in Loop: Header=BB15_16 Depth=1
	s_andn2_b64 vcc, exec, s[12:13]
	s_cbranch_vccnz .LBB15_15
; %bb.55:                               ;   in Loop: Header=BB15_16 Depth=1
	v_mul_lo_u32 v14, v22, s33
	s_mov_b64 s[12:13], -1
	s_and_b64 vcc, exec, s[26:27]
	s_cbranch_vccz .LBB15_57
; %bb.56:                               ;   in Loop: Header=BB15_16 Depth=1
	v_mul_lo_u32 v15, s15, v12
	v_mul_lo_u32 v24, s14, v13
	v_mad_u64_u32 v[22:23], s[12:13], s14, v12, 0
	v_add3_u32 v23, v23, v24, v15
	v_lshl_add_u64 v[22:23], v[22:23], 2, v[6:7]
	global_store_dword v[22:23], v14, off
	s_mov_b64 s[12:13], 0
.LBB15_57:                              ;   in Loop: Header=BB15_16 Depth=1
	s_andn2_b64 vcc, exec, s[12:13]
	s_cbranch_vccnz .LBB15_15
; %bb.58:                               ;   in Loop: Header=BB15_16 Depth=1
	v_lshl_add_u64 v[12:13], v[12:13], 2, v[8:9]
	global_store_dword v[12:13], v14, off
	s_branch .LBB15_15
.LBB15_59:
	s_endpgm
	.section	.rodata,"a",@progbits
	.p2align	6, 0x0
	.amdhsa_kernel _ZN9rocsparseL29bsrmm_general_blockdim_kernelILj32ELj32EiiaaiiEEvb20rocsparse_direction_T2_S2_llNS_24const_host_device_scalarIT6_EEPKT1_PKS2_PKT3_S2_PKT4_llS5_PT5_ll16rocsparse_order_21rocsparse_index_base_b
		.amdhsa_group_segment_fixed_size 8192
		.amdhsa_private_segment_fixed_size 0
		.amdhsa_kernarg_size 140
		.amdhsa_user_sgpr_count 2
		.amdhsa_user_sgpr_dispatch_ptr 0
		.amdhsa_user_sgpr_queue_ptr 0
		.amdhsa_user_sgpr_kernarg_segment_ptr 1
		.amdhsa_user_sgpr_dispatch_id 0
		.amdhsa_user_sgpr_kernarg_preload_length 0
		.amdhsa_user_sgpr_kernarg_preload_offset 0
		.amdhsa_user_sgpr_private_segment_size 0
		.amdhsa_uses_dynamic_stack 0
		.amdhsa_enable_private_segment 0
		.amdhsa_system_sgpr_workgroup_id_x 1
		.amdhsa_system_sgpr_workgroup_id_y 1
		.amdhsa_system_sgpr_workgroup_id_z 0
		.amdhsa_system_sgpr_workgroup_info 0
		.amdhsa_system_vgpr_workitem_id 1
		.amdhsa_next_free_vgpr 42
		.amdhsa_next_free_sgpr 48
		.amdhsa_accum_offset 44
		.amdhsa_reserve_vcc 1
		.amdhsa_float_round_mode_32 0
		.amdhsa_float_round_mode_16_64 0
		.amdhsa_float_denorm_mode_32 3
		.amdhsa_float_denorm_mode_16_64 3
		.amdhsa_dx10_clamp 1
		.amdhsa_ieee_mode 1
		.amdhsa_fp16_overflow 0
		.amdhsa_tg_split 0
		.amdhsa_exception_fp_ieee_invalid_op 0
		.amdhsa_exception_fp_denorm_src 0
		.amdhsa_exception_fp_ieee_div_zero 0
		.amdhsa_exception_fp_ieee_overflow 0
		.amdhsa_exception_fp_ieee_underflow 0
		.amdhsa_exception_fp_ieee_inexact 0
		.amdhsa_exception_int_div_zero 0
	.end_amdhsa_kernel
	.section	.text._ZN9rocsparseL29bsrmm_general_blockdim_kernelILj32ELj32EiiaaiiEEvb20rocsparse_direction_T2_S2_llNS_24const_host_device_scalarIT6_EEPKT1_PKS2_PKT3_S2_PKT4_llS5_PT5_ll16rocsparse_order_21rocsparse_index_base_b,"axG",@progbits,_ZN9rocsparseL29bsrmm_general_blockdim_kernelILj32ELj32EiiaaiiEEvb20rocsparse_direction_T2_S2_llNS_24const_host_device_scalarIT6_EEPKT1_PKS2_PKT3_S2_PKT4_llS5_PT5_ll16rocsparse_order_21rocsparse_index_base_b,comdat
.Lfunc_end15:
	.size	_ZN9rocsparseL29bsrmm_general_blockdim_kernelILj32ELj32EiiaaiiEEvb20rocsparse_direction_T2_S2_llNS_24const_host_device_scalarIT6_EEPKT1_PKS2_PKT3_S2_PKT4_llS5_PT5_ll16rocsparse_order_21rocsparse_index_base_b, .Lfunc_end15-_ZN9rocsparseL29bsrmm_general_blockdim_kernelILj32ELj32EiiaaiiEEvb20rocsparse_direction_T2_S2_llNS_24const_host_device_scalarIT6_EEPKT1_PKS2_PKT3_S2_PKT4_llS5_PT5_ll16rocsparse_order_21rocsparse_index_base_b
                                        ; -- End function
	.set _ZN9rocsparseL29bsrmm_general_blockdim_kernelILj32ELj32EiiaaiiEEvb20rocsparse_direction_T2_S2_llNS_24const_host_device_scalarIT6_EEPKT1_PKS2_PKT3_S2_PKT4_llS5_PT5_ll16rocsparse_order_21rocsparse_index_base_b.num_vgpr, 42
	.set _ZN9rocsparseL29bsrmm_general_blockdim_kernelILj32ELj32EiiaaiiEEvb20rocsparse_direction_T2_S2_llNS_24const_host_device_scalarIT6_EEPKT1_PKS2_PKT3_S2_PKT4_llS5_PT5_ll16rocsparse_order_21rocsparse_index_base_b.num_agpr, 0
	.set _ZN9rocsparseL29bsrmm_general_blockdim_kernelILj32ELj32EiiaaiiEEvb20rocsparse_direction_T2_S2_llNS_24const_host_device_scalarIT6_EEPKT1_PKS2_PKT3_S2_PKT4_llS5_PT5_ll16rocsparse_order_21rocsparse_index_base_b.numbered_sgpr, 48
	.set _ZN9rocsparseL29bsrmm_general_blockdim_kernelILj32ELj32EiiaaiiEEvb20rocsparse_direction_T2_S2_llNS_24const_host_device_scalarIT6_EEPKT1_PKS2_PKT3_S2_PKT4_llS5_PT5_ll16rocsparse_order_21rocsparse_index_base_b.num_named_barrier, 0
	.set _ZN9rocsparseL29bsrmm_general_blockdim_kernelILj32ELj32EiiaaiiEEvb20rocsparse_direction_T2_S2_llNS_24const_host_device_scalarIT6_EEPKT1_PKS2_PKT3_S2_PKT4_llS5_PT5_ll16rocsparse_order_21rocsparse_index_base_b.private_seg_size, 0
	.set _ZN9rocsparseL29bsrmm_general_blockdim_kernelILj32ELj32EiiaaiiEEvb20rocsparse_direction_T2_S2_llNS_24const_host_device_scalarIT6_EEPKT1_PKS2_PKT3_S2_PKT4_llS5_PT5_ll16rocsparse_order_21rocsparse_index_base_b.uses_vcc, 1
	.set _ZN9rocsparseL29bsrmm_general_blockdim_kernelILj32ELj32EiiaaiiEEvb20rocsparse_direction_T2_S2_llNS_24const_host_device_scalarIT6_EEPKT1_PKS2_PKT3_S2_PKT4_llS5_PT5_ll16rocsparse_order_21rocsparse_index_base_b.uses_flat_scratch, 0
	.set _ZN9rocsparseL29bsrmm_general_blockdim_kernelILj32ELj32EiiaaiiEEvb20rocsparse_direction_T2_S2_llNS_24const_host_device_scalarIT6_EEPKT1_PKS2_PKT3_S2_PKT4_llS5_PT5_ll16rocsparse_order_21rocsparse_index_base_b.has_dyn_sized_stack, 0
	.set _ZN9rocsparseL29bsrmm_general_blockdim_kernelILj32ELj32EiiaaiiEEvb20rocsparse_direction_T2_S2_llNS_24const_host_device_scalarIT6_EEPKT1_PKS2_PKT3_S2_PKT4_llS5_PT5_ll16rocsparse_order_21rocsparse_index_base_b.has_recursion, 0
	.set _ZN9rocsparseL29bsrmm_general_blockdim_kernelILj32ELj32EiiaaiiEEvb20rocsparse_direction_T2_S2_llNS_24const_host_device_scalarIT6_EEPKT1_PKS2_PKT3_S2_PKT4_llS5_PT5_ll16rocsparse_order_21rocsparse_index_base_b.has_indirect_call, 0
	.section	.AMDGPU.csdata,"",@progbits
; Kernel info:
; codeLenInByte = 2144
; TotalNumSgprs: 54
; NumVgprs: 42
; NumAgprs: 0
; TotalNumVgprs: 42
; ScratchSize: 0
; MemoryBound: 0
; FloatMode: 240
; IeeeMode: 1
; LDSByteSize: 8192 bytes/workgroup (compile time only)
; SGPRBlocks: 6
; VGPRBlocks: 5
; NumSGPRsForWavesPerEU: 54
; NumVGPRsForWavesPerEU: 42
; AccumOffset: 44
; Occupancy: 8
; WaveLimiterHint : 1
; COMPUTE_PGM_RSRC2:SCRATCH_EN: 0
; COMPUTE_PGM_RSRC2:USER_SGPR: 2
; COMPUTE_PGM_RSRC2:TRAP_HANDLER: 0
; COMPUTE_PGM_RSRC2:TGID_X_EN: 1
; COMPUTE_PGM_RSRC2:TGID_Y_EN: 1
; COMPUTE_PGM_RSRC2:TGID_Z_EN: 0
; COMPUTE_PGM_RSRC2:TIDIG_COMP_CNT: 1
; COMPUTE_PGM_RSRC3_GFX90A:ACCUM_OFFSET: 10
; COMPUTE_PGM_RSRC3_GFX90A:TG_SPLIT: 0
	.section	.text._ZN9rocsparseL29bsrmm_general_blockdim_kernelILj32ELj32EliaaiiEEvb20rocsparse_direction_T2_S2_llNS_24const_host_device_scalarIT6_EEPKT1_PKS2_PKT3_S2_PKT4_llS5_PT5_ll16rocsparse_order_21rocsparse_index_base_b,"axG",@progbits,_ZN9rocsparseL29bsrmm_general_blockdim_kernelILj32ELj32EliaaiiEEvb20rocsparse_direction_T2_S2_llNS_24const_host_device_scalarIT6_EEPKT1_PKS2_PKT3_S2_PKT4_llS5_PT5_ll16rocsparse_order_21rocsparse_index_base_b,comdat
	.globl	_ZN9rocsparseL29bsrmm_general_blockdim_kernelILj32ELj32EliaaiiEEvb20rocsparse_direction_T2_S2_llNS_24const_host_device_scalarIT6_EEPKT1_PKS2_PKT3_S2_PKT4_llS5_PT5_ll16rocsparse_order_21rocsparse_index_base_b ; -- Begin function _ZN9rocsparseL29bsrmm_general_blockdim_kernelILj32ELj32EliaaiiEEvb20rocsparse_direction_T2_S2_llNS_24const_host_device_scalarIT6_EEPKT1_PKS2_PKT3_S2_PKT4_llS5_PT5_ll16rocsparse_order_21rocsparse_index_base_b
	.p2align	8
	.type	_ZN9rocsparseL29bsrmm_general_blockdim_kernelILj32ELj32EliaaiiEEvb20rocsparse_direction_T2_S2_llNS_24const_host_device_scalarIT6_EEPKT1_PKS2_PKT3_S2_PKT4_llS5_PT5_ll16rocsparse_order_21rocsparse_index_base_b,@function
_ZN9rocsparseL29bsrmm_general_blockdim_kernelILj32ELj32EliaaiiEEvb20rocsparse_direction_T2_S2_llNS_24const_host_device_scalarIT6_EEPKT1_PKS2_PKT3_S2_PKT4_llS5_PT5_ll16rocsparse_order_21rocsparse_index_base_b: ; @_ZN9rocsparseL29bsrmm_general_blockdim_kernelILj32ELj32EliaaiiEEvb20rocsparse_direction_T2_S2_llNS_24const_host_device_scalarIT6_EEPKT1_PKS2_PKT3_S2_PKT4_llS5_PT5_ll16rocsparse_order_21rocsparse_index_base_b
; %bb.0:
	s_load_dwordx4 s[8:11], s[0:1], 0x80
	s_load_dwordx2 s[12:13], s[0:1], 0x20
	s_mov_b32 s4, s3
	s_mov_b64 s[14:15], -1
                                        ; implicit-def: $sgpr33
	s_waitcnt lgkmcnt(0)
	s_bitcmp1_b32 s10, 0
	s_cselect_b64 s[6:7], -1, 0
	s_xor_b64 s[10:11], s[6:7], -1
	s_and_b64 vcc, exec, s[10:11]
	s_cbranch_vccnz .LBB16_4
; %bb.1:
	s_load_dwordx2 s[6:7], s[0:1], 0x60
	s_andn2_b64 vcc, exec, s[14:15]
	s_cbranch_vccz .LBB16_5
.LBB16_2:
	s_and_b64 vcc, exec, s[10:11]
	s_cbranch_vccz .LBB16_6
.LBB16_3:
	s_waitcnt lgkmcnt(0)
	s_load_dword s42, s[6:7], 0x0
	s_cbranch_execz .LBB16_7
	s_branch .LBB16_8
.LBB16_4:
	s_load_dword s33, s[12:13], 0x0
	s_load_dwordx2 s[6:7], s[0:1], 0x60
	s_cbranch_execnz .LBB16_2
.LBB16_5:
	s_waitcnt lgkmcnt(0)
	s_mov_b32 s33, s12
	s_and_b64 vcc, exec, s[10:11]
	s_cbranch_vccnz .LBB16_3
.LBB16_6:
                                        ; implicit-def: $sgpr42
.LBB16_7:
	s_waitcnt lgkmcnt(0)
	s_mov_b32 s42, s6
.LBB16_8:
	s_waitcnt lgkmcnt(0)
	s_cmp_eq_u32 s33, 0
	s_cselect_b64 s[6:7], -1, 0
	s_cmp_eq_u32 s42, 1
	s_cselect_b64 s[10:11], -1, 0
	s_and_b64 s[6:7], s[6:7], s[10:11]
	s_and_b64 vcc, exec, s[6:7]
	s_cbranch_vccnz .LBB16_55
; %bb.9:
	s_load_dwordx4 s[24:27], s[0:1], 0x0
	s_load_dwordx2 s[10:11], s[0:1], 0x28
	s_mov_b64 s[30:31], 0
	s_mov_b64 s[6:7], 0
	s_waitcnt lgkmcnt(0)
	s_cmp_lt_i32 s2, s26
	s_cselect_b64 s[28:29], -1, 0
	s_cmp_ge_i32 s2, s26
	s_cbranch_scc0 .LBB16_12
; %bb.10:
	s_andn2_b64 vcc, exec, s[28:29]
	s_cbranch_vccz .LBB16_13
.LBB16_11:
	s_load_dword s43, s[0:1], 0x40
	s_waitcnt lgkmcnt(0)
	s_cmp_lt_i32 s43, 1
	s_cbranch_scc0 .LBB16_14
	s_branch .LBB16_55
.LBB16_12:
	s_ashr_i32 s3, s2, 31
	s_lshl_b64 s[6:7], s[2:3], 3
	s_add_u32 s6, s10, s6
	s_addc_u32 s7, s11, s7
	s_load_dwordx2 s[6:7], s[6:7], 0x0
	s_waitcnt lgkmcnt(0)
	s_sub_u32 s6, s6, s9
	s_subb_u32 s7, s7, 0
	s_andn2_b64 vcc, exec, s[28:29]
	s_cbranch_vccnz .LBB16_11
.LBB16_13:
	s_ashr_i32 s3, s2, 31
	s_lshl_b64 s[12:13], s[2:3], 3
	s_add_u32 s10, s10, s12
	s_addc_u32 s11, s11, s13
	s_load_dwordx2 s[10:11], s[10:11], 0x8
	s_waitcnt lgkmcnt(0)
	s_sub_u32 s30, s10, s9
	s_subb_u32 s31, s11, 0
	s_load_dword s43, s[0:1], 0x40
	s_waitcnt lgkmcnt(0)
	s_cmp_lt_i32 s43, 1
	s_cbranch_scc1 .LBB16_55
.LBB16_14:
	s_load_dwordx4 s[12:15], s[0:1], 0x68
	s_load_dwordx4 s[16:19], s[0:1], 0x30
	;; [unrolled: 1-line block ×3, first 2 shown]
	s_bitcmp1_b32 s24, 0
	v_bfe_u32 v15, v0, 10, 10
	s_cselect_b64 s[0:1], -1, 0
	s_xor_b64 s[10:11], s[0:1], -1
	v_lshl_add_u32 v8, s4, 5, v15
	v_cmp_gt_i32_e64 s[0:1], s27, v8
	v_ashrrev_i32_e32 v9, 31, v8
	s_waitcnt lgkmcnt(0)
	v_mov_b64_e32 v[4:5], s[20:21]
	s_cmp_lg_u32 s25, 0
	v_and_b32_e32 v14, 0x3ff, v0
	s_mul_i32 s44, s43, s2
	v_mov_b64_e32 v[0:1], s[30:31]
	v_lshl_add_u64 v[2:3], s[20:21], 0, v[8:9]
	v_mul_lo_u32 v6, s22, v9
	v_mul_lo_u32 v7, s23, v8
	v_mad_u64_u32 v[4:5], s[2:3], s22, v8, v[4:5]
	s_cselect_b64 s[20:21], -1, 0
	s_and_b64 s[24:25], s[28:29], s[0:1]
	v_lshlrev_b32_e32 v16, 2, v14
	v_add3_u32 v5, v7, v5, v6
	s_cmp_lg_u32 s42, 0
	v_lshl_add_u64 v[6:7], v[8:9], 2, s[12:13]
	v_mul_lo_u32 v11, s14, v9
	v_mul_lo_u32 v12, s15, v8
	v_mad_u64_u32 v[8:9], s[2:3], s14, v8, 0
	v_cmp_lt_i64_e32 vcc, s[6:7], v[0:1]
	v_or_b32_e32 v10, 0x1000, v16
	v_lshlrev_b32_e32 v17, 7, v15
	s_cselect_b64 s[26:27], -1, 0
	s_cmp_lg_u32 s8, 1
	v_add3_u32 v9, v9, v11, v12
	v_cndmask_b32_e64 v11, 0, 1, vcc
	s_mov_b32 s45, 0
	s_mul_i32 s46, s43, s43
	s_cselect_b64 s[28:29], -1, 0
	v_lshl_add_u64 v[8:9], v[8:9], 2, s[12:13]
	v_cmp_ne_u32_e64 s[2:3], 1, v11
	v_add_u32_e32 v18, v10, v17
	v_add_u32_e32 v19, v16, v17
	;; [unrolled: 1-line block ×5, first 2 shown]
	s_branch .LBB16_16
.LBB16_15:                              ;   in Loop: Header=BB16_16 Depth=1
	s_or_b64 exec, exec, s[4:5]
	s_add_i32 s45, s45, 32
	s_cmp_lt_i32 s45, s43
	s_cbranch_scc0 .LBB16_55
.LBB16_16:                              ; =>This Loop Header: Depth=1
                                        ;     Child Loop BB16_19 Depth 2
                                        ;       Child Loop BB16_21 Depth 3
	v_add_u32_e32 v23, s45, v14
	v_mov_b32_e32 v25, 0
	s_and_b64 vcc, exec, s[2:3]
	v_cmp_gt_i32_e64 s[4:5], s43, v23
	s_cbranch_vccnz .LBB16_43
; %bb.17:                               ;   in Loop: Header=BB16_16 Depth=1
	v_mul_lo_u32 v24, v23, s43
	v_mov_b32_e32 v25, 0
	s_mov_b64 s[12:13], s[6:7]
	s_branch .LBB16_19
.LBB16_18:                              ;   in Loop: Header=BB16_19 Depth=2
	s_add_u32 s12, s12, 1
	s_addc_u32 s13, s13, 0
	v_cmp_ge_i64_e32 vcc, s[12:13], v[0:1]
	s_cbranch_vccnz .LBB16_43
.LBB16_19:                              ;   Parent Loop BB16_16 Depth=1
                                        ; =>  This Loop Header: Depth=2
                                        ;       Child Loop BB16_21 Depth 3
	s_lshl_b64 s[30:31], s[12:13], 2
	s_add_u32 s30, s16, s30
	s_addc_u32 s31, s17, s31
	s_load_dword s8, s[30:31], 0x0
	s_mul_i32 s30, s13, s46
	s_mul_hi_u32 s31, s12, s46
	s_mul_i32 s34, s12, s46
	s_add_i32 s31, s31, s30
	s_waitcnt lgkmcnt(0)
	s_sub_i32 s8, s8, s9
	s_mul_i32 s8, s8, s43
	s_add_u32 s30, s18, s34
	s_addc_u32 s31, s19, s31
	v_add_u32_e32 v26, s8, v14
	s_mov_b32 s8, 0
	s_branch .LBB16_21
.LBB16_20:                              ;   in Loop: Header=BB16_21 Depth=3
	s_or_b64 exec, exec, s[34:35]
	s_waitcnt vmcnt(0)
	ds_write_b32 v19, v11
	s_waitcnt lgkmcnt(0)
	s_barrier
	ds_read2_b32 v[40:41], v16 offset1:32
	ds_read_b128 v[10:13], v17 offset:4096
	ds_read_b128 v[28:31], v17 offset:4112
	;; [unrolled: 1-line block ×4, first 2 shown]
	ds_read2_b32 v[42:43], v16 offset0:64 offset1:96
	s_waitcnt lgkmcnt(4)
	v_mul_lo_u32 v10, v10, v40
	v_mul_lo_u32 v11, v11, v41
	v_add3_u32 v25, v10, v25, v11
	ds_read2_b32 v[10:11], v16 offset0:128 offset1:160
	s_waitcnt lgkmcnt(1)
	v_mul_lo_u32 v12, v12, v42
	v_mul_lo_u32 v13, v13, v43
	v_add3_u32 v25, v25, v12, v13
	;; [unrolled: 5-line block ×3, first 2 shown]
	ds_read2_b32 v[10:11], v20 offset1:32
	s_waitcnt lgkmcnt(1)
	v_mul_lo_u32 v12, v30, v12
	v_mul_lo_u32 v13, v31, v13
	v_add3_u32 v25, v25, v12, v13
	ds_read2_b32 v[12:13], v20 offset0:64 offset1:96
	s_waitcnt lgkmcnt(1)
	v_mul_lo_u32 v10, v32, v10
	v_mul_lo_u32 v11, v33, v11
	v_add3_u32 v25, v25, v10, v11
	ds_read2_b32 v[10:11], v20 offset0:128 offset1:160
	s_waitcnt lgkmcnt(1)
	v_mul_lo_u32 v12, v34, v12
	v_mul_lo_u32 v13, v35, v13
	ds_read2_b32 v[28:29], v20 offset0:192 offset1:224
	v_add3_u32 v12, v25, v12, v13
	s_waitcnt lgkmcnt(1)
	v_mul_lo_u32 v10, v36, v10
	v_mul_lo_u32 v11, v37, v11
	v_add3_u32 v25, v12, v10, v11
	ds_read2_b32 v[32:33], v21 offset1:32
	ds_read_b128 v[10:13], v17 offset:4160
	s_waitcnt lgkmcnt(2)
	v_mul_lo_u32 v27, v38, v28
	v_mul_lo_u32 v28, v39, v29
	v_add3_u32 v25, v25, v27, v28
	ds_read2_b32 v[34:35], v21 offset0:64 offset1:96
	ds_read_b128 v[28:31], v17 offset:4176
	s_waitcnt lgkmcnt(2)
	v_mul_lo_u32 v10, v10, v32
	v_mul_lo_u32 v11, v11, v33
	v_add3_u32 v25, v25, v10, v11
	ds_read2_b32 v[10:11], v21 offset0:128 offset1:160
	ds_read2_b32 v[32:33], v21 offset0:192 offset1:224
	s_waitcnt lgkmcnt(3)
	v_mul_lo_u32 v12, v12, v34
	v_mul_lo_u32 v13, v13, v35
	v_add3_u32 v12, v25, v12, v13
	s_waitcnt lgkmcnt(1)
	v_mul_lo_u32 v11, v29, v11
	v_mul_lo_u32 v10, v28, v10
	v_add3_u32 v25, v12, v10, v11
	ds_read2_b32 v[34:35], v22 offset1:32
	ds_read_b128 v[10:13], v17 offset:4192
	s_waitcnt lgkmcnt(2)
	v_mul_lo_u32 v27, v31, v33
	v_mul_lo_u32 v28, v30, v32
	v_add3_u32 v25, v25, v28, v27
	ds_read2_b32 v[32:33], v22 offset0:64 offset1:96
	ds_read_b128 v[28:31], v17 offset:4208
	s_waitcnt lgkmcnt(2)
	v_mul_lo_u32 v11, v11, v35
	v_mul_lo_u32 v10, v10, v34
	v_add3_u32 v25, v25, v10, v11
	ds_read2_b32 v[10:11], v22 offset0:128 offset1:160
	s_waitcnt lgkmcnt(2)
	v_mul_lo_u32 v27, v13, v33
	v_mul_lo_u32 v32, v12, v32
	ds_read2_b32 v[12:13], v22 offset0:192 offset1:224
	v_add3_u32 v25, v25, v32, v27
	s_waitcnt lgkmcnt(1)
	v_mul_lo_u32 v11, v29, v11
	v_mul_lo_u32 v10, v28, v10
	v_add3_u32 v10, v25, v10, v11
	s_waitcnt lgkmcnt(0)
	v_mul_lo_u32 v11, v31, v13
	v_mul_lo_u32 v12, v30, v12
	s_add_i32 s8, s8, 32
	v_add3_u32 v25, v10, v12, v11
	s_cmp_ge_i32 s8, s43
	s_barrier
	s_cbranch_scc1 .LBB16_18
.LBB16_21:                              ;   Parent Loop BB16_16 Depth=1
                                        ;     Parent Loop BB16_19 Depth=2
                                        ; =>    This Inner Loop Header: Depth=3
	s_mov_b64 s[34:35], -1
	s_and_b64 vcc, exec, s[10:11]
                                        ; implicit-def: $vgpr10
	s_cbranch_vccnz .LBB16_30
; %bb.22:                               ;   in Loop: Header=BB16_21 Depth=3
	s_andn2_b64 vcc, exec, s[34:35]
	s_cbranch_vccz .LBB16_35
.LBB16_23:                              ;   in Loop: Header=BB16_21 Depth=3
	s_and_b64 vcc, exec, s[20:21]
	s_waitcnt vmcnt(0)
	ds_write_b32 v18, v10
	s_cbranch_vccz .LBB16_40
.LBB16_24:                              ;   in Loop: Header=BB16_21 Depth=3
	s_mov_b64 s[34:35], 0
	s_mov_b64 s[36:37], 0
                                        ; implicit-def: $vgpr10
	s_and_saveexec_b64 s[38:39], s[4:5]
	s_cbranch_execz .LBB16_28
; %bb.25:                               ;   in Loop: Header=BB16_21 Depth=3
	v_add_u32_e32 v11, s8, v15
	v_cmp_gt_i32_e32 vcc, s43, v11
                                        ; implicit-def: $vgpr10
	s_and_saveexec_b64 s[40:41], vcc
	s_xor_b64 s[40:41], exec, s[40:41]
; %bb.26:                               ;   in Loop: Header=BB16_21 Depth=3
	s_mov_b64 s[36:37], exec
	v_mul_lo_u32 v10, v11, s43
; %bb.27:                               ;   in Loop: Header=BB16_21 Depth=3
	s_or_b64 exec, exec, s[40:41]
	s_and_b64 s[36:37], s[36:37], exec
.LBB16_28:                              ;   in Loop: Header=BB16_21 Depth=3
	s_or_b64 exec, exec, s[38:39]
	s_and_b64 vcc, exec, s[34:35]
	s_cbranch_vccz .LBB16_41
.LBB16_29:                              ;   in Loop: Header=BB16_21 Depth=3
	v_add_u32_e32 v10, s8, v15
	v_cmp_gt_i32_e32 vcc, s43, v10
	s_and_b64 s[34:35], s[4:5], vcc
	s_andn2_b64 s[36:37], s[36:37], exec
	s_and_b64 s[34:35], s[34:35], exec
	s_or_b64 s[36:37], s[36:37], s[34:35]
	v_mov_b32_e32 v12, v24
	v_mov_b32_e32 v11, 0
	s_and_saveexec_b64 s[34:35], s[36:37]
	s_cbranch_execz .LBB16_20
	s_branch .LBB16_42
.LBB16_30:                              ;   in Loop: Header=BB16_21 Depth=3
	v_mov_b32_e32 v10, 0
	s_and_saveexec_b64 s[34:35], s[0:1]
	s_cbranch_execz .LBB16_34
; %bb.31:                               ;   in Loop: Header=BB16_21 Depth=3
	v_add_u32_e32 v10, s8, v14
	v_cmp_gt_i32_e32 vcc, s43, v10
	v_mov_b32_e32 v10, 0
	s_and_saveexec_b64 s[36:37], vcc
	s_cbranch_execz .LBB16_33
; %bb.32:                               ;   in Loop: Header=BB16_21 Depth=3
	v_add_u32_e32 v10, s8, v26
	v_ashrrev_i32_e32 v11, 31, v10
	v_mul_lo_u32 v12, s22, v11
	v_mul_lo_u32 v13, s23, v10
	v_mad_u64_u32 v[10:11], s[38:39], s22, v10, v[2:3]
	v_add3_u32 v11, v13, v11, v12
	global_load_sbyte v10, v[10:11], off
.LBB16_33:                              ;   in Loop: Header=BB16_21 Depth=3
	s_or_b64 exec, exec, s[36:37]
.LBB16_34:                              ;   in Loop: Header=BB16_21 Depth=3
	s_or_b64 exec, exec, s[34:35]
	s_cbranch_execnz .LBB16_23
.LBB16_35:                              ;   in Loop: Header=BB16_21 Depth=3
	s_waitcnt vmcnt(0)
	v_mov_b32_e32 v10, 0
	s_and_saveexec_b64 s[34:35], s[0:1]
	s_cbranch_execz .LBB16_39
; %bb.36:                               ;   in Loop: Header=BB16_21 Depth=3
	v_add_u32_e32 v10, s8, v14
	v_cmp_gt_i32_e32 vcc, s43, v10
	v_mov_b32_e32 v10, 0
	s_and_saveexec_b64 s[36:37], vcc
	s_cbranch_execz .LBB16_38
; %bb.37:                               ;   in Loop: Header=BB16_21 Depth=3
	v_add_u32_e32 v10, s8, v26
	v_ashrrev_i32_e32 v11, 31, v10
	v_lshl_add_u64 v[10:11], v[4:5], 0, v[10:11]
	global_load_sbyte v10, v[10:11], off
.LBB16_38:                              ;   in Loop: Header=BB16_21 Depth=3
	s_or_b64 exec, exec, s[36:37]
.LBB16_39:                              ;   in Loop: Header=BB16_21 Depth=3
	s_or_b64 exec, exec, s[34:35]
	s_and_b64 vcc, exec, s[20:21]
	s_waitcnt vmcnt(0)
	ds_write_b32 v18, v10
	s_cbranch_vccnz .LBB16_24
.LBB16_40:                              ;   in Loop: Header=BB16_21 Depth=3
	s_mov_b64 s[36:37], 0
                                        ; implicit-def: $vgpr10
	s_cbranch_execnz .LBB16_29
.LBB16_41:                              ;   in Loop: Header=BB16_21 Depth=3
	v_mov_b32_e32 v12, v23
	v_mov_b32_e32 v11, 0
	s_and_saveexec_b64 s[34:35], s[36:37]
	s_cbranch_execz .LBB16_20
.LBB16_42:                              ;   in Loop: Header=BB16_21 Depth=3
	v_ashrrev_i32_e32 v13, 31, v12
	v_lshl_add_u64 v[12:13], s[30:31], 0, v[12:13]
	v_ashrrev_i32_e32 v11, 31, v10
	v_lshl_add_u64 v[10:11], v[12:13], 0, v[10:11]
	global_load_sbyte v11, v[10:11], off
	s_branch .LBB16_20
.LBB16_43:                              ;   in Loop: Header=BB16_16 Depth=1
	v_cmp_gt_i32_e32 vcc, s43, v23
	s_and_b64 s[12:13], s[24:25], vcc
	s_and_saveexec_b64 s[4:5], s[12:13]
	s_cbranch_execz .LBB16_15
; %bb.44:                               ;   in Loop: Header=BB16_16 Depth=1
	v_add_u32_e32 v10, s44, v23
	s_and_b64 vcc, exec, s[26:27]
	v_ashrrev_i32_e32 v11, 31, v10
	s_mov_b64 s[12:13], -1
	s_cbranch_vccz .LBB16_50
; %bb.45:                               ;   in Loop: Header=BB16_16 Depth=1
	s_and_b64 vcc, exec, s[28:29]
	s_cbranch_vccz .LBB16_47
; %bb.46:                               ;   in Loop: Header=BB16_16 Depth=1
	v_mul_lo_u32 v23, s15, v10
	v_mul_lo_u32 v24, s14, v11
	v_mad_u64_u32 v[12:13], s[12:13], s14, v10, 0
	v_add3_u32 v13, v13, v24, v23
	v_lshl_add_u64 v[12:13], v[12:13], 2, v[6:7]
	global_load_dword v23, v[12:13], off
	v_mul_lo_u32 v24, v25, s33
	s_waitcnt vmcnt(0)
	v_mad_u64_u32 v[26:27], s[12:13], v23, s42, v[24:25]
	global_store_dword v[12:13], v26, off
	s_mov_b64 s[12:13], 0
.LBB16_47:                              ;   in Loop: Header=BB16_16 Depth=1
	s_andn2_b64 vcc, exec, s[12:13]
	s_cbranch_vccnz .LBB16_49
; %bb.48:                               ;   in Loop: Header=BB16_16 Depth=1
	v_lshl_add_u64 v[12:13], v[10:11], 2, v[8:9]
	global_load_dword v23, v[12:13], off
	v_mul_lo_u32 v24, v25, s33
	s_waitcnt vmcnt(0)
	v_mad_u64_u32 v[26:27], s[12:13], v23, s42, v[24:25]
	global_store_dword v[12:13], v26, off
.LBB16_49:                              ;   in Loop: Header=BB16_16 Depth=1
	s_mov_b64 s[12:13], 0
.LBB16_50:                              ;   in Loop: Header=BB16_16 Depth=1
	s_andn2_b64 vcc, exec, s[12:13]
	s_cbranch_vccnz .LBB16_15
; %bb.51:                               ;   in Loop: Header=BB16_16 Depth=1
	v_mul_lo_u32 v12, v25, s33
	s_mov_b64 s[12:13], -1
	s_and_b64 vcc, exec, s[28:29]
	s_cbranch_vccz .LBB16_53
; %bb.52:                               ;   in Loop: Header=BB16_16 Depth=1
	v_mul_lo_u32 v13, s15, v10
	v_mul_lo_u32 v23, s14, v11
	v_mad_u64_u32 v[24:25], s[12:13], s14, v10, 0
	v_add3_u32 v25, v25, v23, v13
	v_lshl_add_u64 v[24:25], v[24:25], 2, v[6:7]
	global_store_dword v[24:25], v12, off
	s_mov_b64 s[12:13], 0
.LBB16_53:                              ;   in Loop: Header=BB16_16 Depth=1
	s_andn2_b64 vcc, exec, s[12:13]
	s_cbranch_vccnz .LBB16_15
; %bb.54:                               ;   in Loop: Header=BB16_16 Depth=1
	v_lshl_add_u64 v[10:11], v[10:11], 2, v[8:9]
	global_store_dword v[10:11], v12, off
	s_branch .LBB16_15
.LBB16_55:
	s_endpgm
	.section	.rodata,"a",@progbits
	.p2align	6, 0x0
	.amdhsa_kernel _ZN9rocsparseL29bsrmm_general_blockdim_kernelILj32ELj32EliaaiiEEvb20rocsparse_direction_T2_S2_llNS_24const_host_device_scalarIT6_EEPKT1_PKS2_PKT3_S2_PKT4_llS5_PT5_ll16rocsparse_order_21rocsparse_index_base_b
		.amdhsa_group_segment_fixed_size 8192
		.amdhsa_private_segment_fixed_size 0
		.amdhsa_kernarg_size 140
		.amdhsa_user_sgpr_count 2
		.amdhsa_user_sgpr_dispatch_ptr 0
		.amdhsa_user_sgpr_queue_ptr 0
		.amdhsa_user_sgpr_kernarg_segment_ptr 1
		.amdhsa_user_sgpr_dispatch_id 0
		.amdhsa_user_sgpr_kernarg_preload_length 0
		.amdhsa_user_sgpr_kernarg_preload_offset 0
		.amdhsa_user_sgpr_private_segment_size 0
		.amdhsa_uses_dynamic_stack 0
		.amdhsa_enable_private_segment 0
		.amdhsa_system_sgpr_workgroup_id_x 1
		.amdhsa_system_sgpr_workgroup_id_y 1
		.amdhsa_system_sgpr_workgroup_id_z 0
		.amdhsa_system_sgpr_workgroup_info 0
		.amdhsa_system_vgpr_workitem_id 1
		.amdhsa_next_free_vgpr 44
		.amdhsa_next_free_sgpr 47
		.amdhsa_accum_offset 44
		.amdhsa_reserve_vcc 1
		.amdhsa_float_round_mode_32 0
		.amdhsa_float_round_mode_16_64 0
		.amdhsa_float_denorm_mode_32 3
		.amdhsa_float_denorm_mode_16_64 3
		.amdhsa_dx10_clamp 1
		.amdhsa_ieee_mode 1
		.amdhsa_fp16_overflow 0
		.amdhsa_tg_split 0
		.amdhsa_exception_fp_ieee_invalid_op 0
		.amdhsa_exception_fp_denorm_src 0
		.amdhsa_exception_fp_ieee_div_zero 0
		.amdhsa_exception_fp_ieee_overflow 0
		.amdhsa_exception_fp_ieee_underflow 0
		.amdhsa_exception_fp_ieee_inexact 0
		.amdhsa_exception_int_div_zero 0
	.end_amdhsa_kernel
	.section	.text._ZN9rocsparseL29bsrmm_general_blockdim_kernelILj32ELj32EliaaiiEEvb20rocsparse_direction_T2_S2_llNS_24const_host_device_scalarIT6_EEPKT1_PKS2_PKT3_S2_PKT4_llS5_PT5_ll16rocsparse_order_21rocsparse_index_base_b,"axG",@progbits,_ZN9rocsparseL29bsrmm_general_blockdim_kernelILj32ELj32EliaaiiEEvb20rocsparse_direction_T2_S2_llNS_24const_host_device_scalarIT6_EEPKT1_PKS2_PKT3_S2_PKT4_llS5_PT5_ll16rocsparse_order_21rocsparse_index_base_b,comdat
.Lfunc_end16:
	.size	_ZN9rocsparseL29bsrmm_general_blockdim_kernelILj32ELj32EliaaiiEEvb20rocsparse_direction_T2_S2_llNS_24const_host_device_scalarIT6_EEPKT1_PKS2_PKT3_S2_PKT4_llS5_PT5_ll16rocsparse_order_21rocsparse_index_base_b, .Lfunc_end16-_ZN9rocsparseL29bsrmm_general_blockdim_kernelILj32ELj32EliaaiiEEvb20rocsparse_direction_T2_S2_llNS_24const_host_device_scalarIT6_EEPKT1_PKS2_PKT3_S2_PKT4_llS5_PT5_ll16rocsparse_order_21rocsparse_index_base_b
                                        ; -- End function
	.set _ZN9rocsparseL29bsrmm_general_blockdim_kernelILj32ELj32EliaaiiEEvb20rocsparse_direction_T2_S2_llNS_24const_host_device_scalarIT6_EEPKT1_PKS2_PKT3_S2_PKT4_llS5_PT5_ll16rocsparse_order_21rocsparse_index_base_b.num_vgpr, 44
	.set _ZN9rocsparseL29bsrmm_general_blockdim_kernelILj32ELj32EliaaiiEEvb20rocsparse_direction_T2_S2_llNS_24const_host_device_scalarIT6_EEPKT1_PKS2_PKT3_S2_PKT4_llS5_PT5_ll16rocsparse_order_21rocsparse_index_base_b.num_agpr, 0
	.set _ZN9rocsparseL29bsrmm_general_blockdim_kernelILj32ELj32EliaaiiEEvb20rocsparse_direction_T2_S2_llNS_24const_host_device_scalarIT6_EEPKT1_PKS2_PKT3_S2_PKT4_llS5_PT5_ll16rocsparse_order_21rocsparse_index_base_b.numbered_sgpr, 47
	.set _ZN9rocsparseL29bsrmm_general_blockdim_kernelILj32ELj32EliaaiiEEvb20rocsparse_direction_T2_S2_llNS_24const_host_device_scalarIT6_EEPKT1_PKS2_PKT3_S2_PKT4_llS5_PT5_ll16rocsparse_order_21rocsparse_index_base_b.num_named_barrier, 0
	.set _ZN9rocsparseL29bsrmm_general_blockdim_kernelILj32ELj32EliaaiiEEvb20rocsparse_direction_T2_S2_llNS_24const_host_device_scalarIT6_EEPKT1_PKS2_PKT3_S2_PKT4_llS5_PT5_ll16rocsparse_order_21rocsparse_index_base_b.private_seg_size, 0
	.set _ZN9rocsparseL29bsrmm_general_blockdim_kernelILj32ELj32EliaaiiEEvb20rocsparse_direction_T2_S2_llNS_24const_host_device_scalarIT6_EEPKT1_PKS2_PKT3_S2_PKT4_llS5_PT5_ll16rocsparse_order_21rocsparse_index_base_b.uses_vcc, 1
	.set _ZN9rocsparseL29bsrmm_general_blockdim_kernelILj32ELj32EliaaiiEEvb20rocsparse_direction_T2_S2_llNS_24const_host_device_scalarIT6_EEPKT1_PKS2_PKT3_S2_PKT4_llS5_PT5_ll16rocsparse_order_21rocsparse_index_base_b.uses_flat_scratch, 0
	.set _ZN9rocsparseL29bsrmm_general_blockdim_kernelILj32ELj32EliaaiiEEvb20rocsparse_direction_T2_S2_llNS_24const_host_device_scalarIT6_EEPKT1_PKS2_PKT3_S2_PKT4_llS5_PT5_ll16rocsparse_order_21rocsparse_index_base_b.has_dyn_sized_stack, 0
	.set _ZN9rocsparseL29bsrmm_general_blockdim_kernelILj32ELj32EliaaiiEEvb20rocsparse_direction_T2_S2_llNS_24const_host_device_scalarIT6_EEPKT1_PKS2_PKT3_S2_PKT4_llS5_PT5_ll16rocsparse_order_21rocsparse_index_base_b.has_recursion, 0
	.set _ZN9rocsparseL29bsrmm_general_blockdim_kernelILj32ELj32EliaaiiEEvb20rocsparse_direction_T2_S2_llNS_24const_host_device_scalarIT6_EEPKT1_PKS2_PKT3_S2_PKT4_llS5_PT5_ll16rocsparse_order_21rocsparse_index_base_b.has_indirect_call, 0
	.section	.AMDGPU.csdata,"",@progbits
; Kernel info:
; codeLenInByte = 2132
; TotalNumSgprs: 53
; NumVgprs: 44
; NumAgprs: 0
; TotalNumVgprs: 44
; ScratchSize: 0
; MemoryBound: 0
; FloatMode: 240
; IeeeMode: 1
; LDSByteSize: 8192 bytes/workgroup (compile time only)
; SGPRBlocks: 6
; VGPRBlocks: 5
; NumSGPRsForWavesPerEU: 53
; NumVGPRsForWavesPerEU: 44
; AccumOffset: 44
; Occupancy: 8
; WaveLimiterHint : 1
; COMPUTE_PGM_RSRC2:SCRATCH_EN: 0
; COMPUTE_PGM_RSRC2:USER_SGPR: 2
; COMPUTE_PGM_RSRC2:TRAP_HANDLER: 0
; COMPUTE_PGM_RSRC2:TGID_X_EN: 1
; COMPUTE_PGM_RSRC2:TGID_Y_EN: 1
; COMPUTE_PGM_RSRC2:TGID_Z_EN: 0
; COMPUTE_PGM_RSRC2:TIDIG_COMP_CNT: 1
; COMPUTE_PGM_RSRC3_GFX90A:ACCUM_OFFSET: 10
; COMPUTE_PGM_RSRC3_GFX90A:TG_SPLIT: 0
	.section	.text._ZN9rocsparseL29bsrmm_general_blockdim_kernelILj32ELj32EllaaiiEEvb20rocsparse_direction_T2_S2_llNS_24const_host_device_scalarIT6_EEPKT1_PKS2_PKT3_S2_PKT4_llS5_PT5_ll16rocsparse_order_21rocsparse_index_base_b,"axG",@progbits,_ZN9rocsparseL29bsrmm_general_blockdim_kernelILj32ELj32EllaaiiEEvb20rocsparse_direction_T2_S2_llNS_24const_host_device_scalarIT6_EEPKT1_PKS2_PKT3_S2_PKT4_llS5_PT5_ll16rocsparse_order_21rocsparse_index_base_b,comdat
	.globl	_ZN9rocsparseL29bsrmm_general_blockdim_kernelILj32ELj32EllaaiiEEvb20rocsparse_direction_T2_S2_llNS_24const_host_device_scalarIT6_EEPKT1_PKS2_PKT3_S2_PKT4_llS5_PT5_ll16rocsparse_order_21rocsparse_index_base_b ; -- Begin function _ZN9rocsparseL29bsrmm_general_blockdim_kernelILj32ELj32EllaaiiEEvb20rocsparse_direction_T2_S2_llNS_24const_host_device_scalarIT6_EEPKT1_PKS2_PKT3_S2_PKT4_llS5_PT5_ll16rocsparse_order_21rocsparse_index_base_b
	.p2align	8
	.type	_ZN9rocsparseL29bsrmm_general_blockdim_kernelILj32ELj32EllaaiiEEvb20rocsparse_direction_T2_S2_llNS_24const_host_device_scalarIT6_EEPKT1_PKS2_PKT3_S2_PKT4_llS5_PT5_ll16rocsparse_order_21rocsparse_index_base_b,@function
_ZN9rocsparseL29bsrmm_general_blockdim_kernelILj32ELj32EllaaiiEEvb20rocsparse_direction_T2_S2_llNS_24const_host_device_scalarIT6_EEPKT1_PKS2_PKT3_S2_PKT4_llS5_PT5_ll16rocsparse_order_21rocsparse_index_base_b: ; @_ZN9rocsparseL29bsrmm_general_blockdim_kernelILj32ELj32EllaaiiEEvb20rocsparse_direction_T2_S2_llNS_24const_host_device_scalarIT6_EEPKT1_PKS2_PKT3_S2_PKT4_llS5_PT5_ll16rocsparse_order_21rocsparse_index_base_b
; %bb.0:
	s_load_dwordx4 s[20:23], s[0:1], 0x88
	s_load_dwordx2 s[10:11], s[0:1], 0x28
	s_mov_b32 s6, s3
	s_mov_b64 s[12:13], -1
                                        ; implicit-def: $sgpr33
	s_waitcnt lgkmcnt(0)
	s_bitcmp1_b32 s22, 0
	s_cselect_b64 s[4:5], -1, 0
	s_xor_b64 s[8:9], s[4:5], -1
	s_and_b64 vcc, exec, s[8:9]
	s_cbranch_vccnz .LBB17_4
; %bb.1:
	s_load_dwordx2 s[4:5], s[0:1], 0x68
	s_andn2_b64 vcc, exec, s[12:13]
	s_cbranch_vccz .LBB17_5
.LBB17_2:
	s_and_b64 vcc, exec, s[8:9]
	s_cbranch_vccz .LBB17_6
.LBB17_3:
	s_waitcnt lgkmcnt(0)
	s_load_dword s48, s[4:5], 0x0
	s_cbranch_execz .LBB17_7
	s_branch .LBB17_8
.LBB17_4:
	s_load_dword s33, s[10:11], 0x0
	s_load_dwordx2 s[4:5], s[0:1], 0x68
	s_cbranch_execnz .LBB17_2
.LBB17_5:
	s_waitcnt lgkmcnt(0)
	s_mov_b32 s33, s10
	s_and_b64 vcc, exec, s[8:9]
	s_cbranch_vccnz .LBB17_3
.LBB17_6:
                                        ; implicit-def: $sgpr48
.LBB17_7:
	s_waitcnt lgkmcnt(0)
	s_mov_b32 s48, s4
.LBB17_8:
	s_waitcnt lgkmcnt(0)
	s_cmp_eq_u32 s33, 0
	s_cselect_b64 s[4:5], -1, 0
	s_cmp_eq_u32 s48, 1
	s_cselect_b64 s[8:9], -1, 0
	s_and_b64 s[4:5], s[4:5], s[8:9]
	s_and_b64 vcc, exec, s[4:5]
	s_cbranch_vccnz .LBB17_57
; %bb.9:
	s_load_dwordx4 s[24:27], s[0:1], 0x8
	s_load_dwordx2 s[8:9], s[0:1], 0x30
	s_ashr_i32 s3, s2, 31
	v_mov_b64_e32 v[2:3], s[2:3]
	s_mov_b64 s[22:23], 0
	s_waitcnt lgkmcnt(0)
	v_cmp_le_i64_e32 vcc, s[24:25], v[2:3]
	v_cmp_gt_i64_e64 s[4:5], s[24:25], v[2:3]
	s_mov_b64 s[24:25], 0
	s_cbranch_vccz .LBB17_12
; %bb.10:
	s_andn2_b64 vcc, exec, s[4:5]
	s_cbranch_vccz .LBB17_13
.LBB17_11:
	s_load_dwordx2 s[28:29], s[0:1], 0x48
	s_waitcnt lgkmcnt(0)
	v_cmp_lt_i64_e64 s[8:9], s[28:29], 1
	s_and_b64 vcc, exec, s[8:9]
	s_cbranch_vccz .LBB17_14
	s_branch .LBB17_57
.LBB17_12:
	s_lshl_b64 s[10:11], s[2:3], 3
	s_add_u32 s10, s8, s10
	s_addc_u32 s11, s9, s11
	s_load_dwordx2 s[10:11], s[10:11], 0x0
	s_waitcnt lgkmcnt(0)
	s_sub_u32 s24, s10, s21
	s_subb_u32 s25, s11, 0
	s_andn2_b64 vcc, exec, s[4:5]
	s_cbranch_vccnz .LBB17_11
.LBB17_13:
	s_lshl_b64 s[10:11], s[2:3], 3
	s_add_u32 s8, s8, s10
	s_addc_u32 s9, s9, s11
	s_load_dwordx2 s[8:9], s[8:9], 0x8
	s_waitcnt lgkmcnt(0)
	s_sub_u32 s22, s8, s21
	s_subb_u32 s23, s9, 0
	s_load_dwordx2 s[28:29], s[0:1], 0x48
	s_waitcnt lgkmcnt(0)
	v_cmp_lt_i64_e64 s[8:9], s[28:29], 1
	s_and_b64 vcc, exec, s[8:9]
	s_cbranch_vccnz .LBB17_57
.LBB17_14:
	s_load_dwordx4 s[8:11], s[0:1], 0x70
	s_load_dwordx4 s[12:15], s[0:1], 0x50
	;; [unrolled: 1-line block ×3, first 2 shown]
	s_load_dwordx2 s[34:35], s[0:1], 0x0
	v_bfe_u32 v2, v0, 10, 10
	v_lshl_add_u32 v10, s6, 5, v2
	s_waitcnt lgkmcnt(0)
	v_mov_b64_e32 v[6:7], s[12:13]
	s_mul_i32 s30, s28, s2
	s_bitcmp1_b32 s34, 0
	s_cselect_b64 s[0:1], -1, 0
	s_xor_b64 s[6:7], s[0:1], -1
	s_mul_i32 s0, s29, s2
	s_mul_hi_u32 s1, s28, s2
	v_mad_u64_u32 v[6:7], s[2:3], s14, v10, v[6:7]
	v_mov_b32_e32 v8, v7
	v_mad_u64_u32 v[8:9], s[2:3], s15, v10, v[8:9]
	v_mov_b32_e32 v11, 0
	s_add_i32 s31, s1, s0
	v_mov_b32_e32 v7, v8
	v_mad_u64_u32 v[8:9], s[2:3], s10, v10, 0
	v_cmp_gt_i64_e64 s[0:1], s[26:27], v[10:11]
	s_cmp_lg_u32 s35, 0
	v_mov_b32_e32 v12, v9
	v_and_b32_e32 v0, 0x3ff, v0
	v_mov_b32_e32 v1, v11
	s_cselect_b64 s[26:27], -1, 0
	s_and_b64 s[34:35], s[4:5], s[0:1]
	v_mad_u64_u32 v[12:13], s[2:3], s11, v10, v[12:13]
	v_mov_b32_e32 v32, s28
	s_cmp_lg_u32 s48, 0
	v_mov_b32_e32 v9, v12
	v_mad_u64_u32 v[12:13], s[2:3], s24, v32, v[0:1]
	s_cselect_b64 s[36:37], -1, 0
	s_cmp_lg_u32 s20, 1
	s_mul_i32 s2, s25, s28
	s_mul_i32 s3, s24, s29
	s_mov_b32 s49, s21
	v_mov_b32_e32 v3, v11
	s_cselect_b64 s[20:21], -1, 0
	s_add_i32 s4, s3, s2
	v_add_u32_e32 v13, s4, v13
	v_mad_u64_u32 v[14:15], s[2:3], s28, v12, v[2:3]
	v_mul_lo_u32 v13, s28, v13
	v_mul_lo_u32 v12, s29, v12
	s_mul_i32 s2, s28, s29
	s_mul_hi_u32 s3, s28, s28
	v_add3_u32 v15, v12, v15, v13
	s_add_i32 s3, s3, s2
	v_lshl_add_u64 v[12:13], s[18:19], 0, v[14:15]
	s_add_i32 s39, s3, s2
	v_mad_u64_u32 v[14:15], s[2:3], s24, v32, v[2:3]
	v_mov_b64_e32 v[16:17], s[22:23]
	v_add_u32_e32 v15, s4, v15
	v_lshlrev_b32_e32 v30, 2, v0
	v_mul_lo_u32 v15, s28, v15
	v_mad_u64_u32 v[18:19], s[2:3], s28, v14, v[0:1]
	v_mul_lo_u32 v14, s29, v14
	v_cmp_lt_i64_e32 vcc, s[24:25], v[16:17]
	v_or_b32_e32 v20, 0x1000, v30
	v_lshlrev_b32_e32 v31, 7, v2
	v_add3_u32 v19, v14, v19, v15
	v_cndmask_b32_e64 v16, 0, 1, vcc
	v_lshl_add_u64 v[4:5], v[10:11], 2, s[8:9]
	v_lshl_add_u64 v[8:9], v[8:9], 2, s[8:9]
	;; [unrolled: 1-line block ×3, first 2 shown]
	s_lshl_b64 s[8:9], s[14:15], 5
	s_lshl_b64 s[12:13], s[28:29], 5
	s_mul_i32 s38, s28, s28
	v_lshl_add_u64 v[14:15], s[18:19], 0, v[18:19]
	s_mov_b64 s[18:19], 0
	v_cmp_ne_u32_e64 s[2:3], 1, v16
	v_add_u32_e32 v33, v20, v31
	v_add_u32_e32 v34, v30, v31
	;; [unrolled: 1-line block ×3, first 2 shown]
	s_branch .LBB17_16
.LBB17_15:                              ;   in Loop: Header=BB17_16 Depth=1
	s_or_b64 exec, exec, s[4:5]
	s_add_u32 s18, s18, 32
	s_addc_u32 s19, s19, 0
	v_mov_b64_e32 v[16:17], s[28:29]
	v_cmp_lt_i64_e32 vcc, s[18:19], v[16:17]
	v_lshl_add_u64 v[12:13], v[12:13], 0, s[12:13]
	v_lshl_add_u64 v[14:15], v[14:15], 0, 32
	s_cbranch_vccz .LBB17_57
.LBB17_16:                              ; =>This Loop Header: Depth=1
                                        ;     Child Loop BB17_19 Depth 2
                                        ;       Child Loop BB17_23 Depth 3
	v_lshl_add_u64 v[16:17], s[18:19], 0, v[0:1]
	s_and_b64 vcc, exec, s[2:3]
	v_cmp_gt_i64_e64 s[4:5], s[28:29], v[16:17]
	v_mov_b32_e32 v36, 0
	s_cbranch_vccnz .LBB17_45
; %bb.17:                               ;   in Loop: Header=BB17_16 Depth=1
	v_mov_b32_e32 v36, 0
	v_mov_b64_e32 v[18:19], v[14:15]
	v_mov_b64_e32 v[20:21], v[12:13]
	s_mov_b64 s[40:41], s[24:25]
	s_branch .LBB17_19
.LBB17_18:                              ;   in Loop: Header=BB17_19 Depth=2
	s_add_u32 s40, s40, 1
	s_addc_u32 s41, s41, 0
	v_mov_b64_e32 v[22:23], s[22:23]
	v_cmp_ge_i64_e32 vcc, s[40:41], v[22:23]
	v_lshl_add_u64 v[20:21], v[20:21], 0, s[38:39]
	v_lshl_add_u64 v[18:19], v[18:19], 0, s[38:39]
	s_cbranch_vccnz .LBB17_45
.LBB17_19:                              ;   Parent Loop BB17_16 Depth=1
                                        ; =>  This Loop Header: Depth=2
                                        ;       Child Loop BB17_23 Depth 3
	s_lshl_b64 s[42:43], s[40:41], 3
	s_add_u32 s42, s16, s42
	s_addc_u32 s43, s17, s43
	s_load_dwordx2 s[42:43], s[42:43], 0x0
	v_mov_b64_e32 v[28:29], v[0:1]
	s_waitcnt lgkmcnt(0)
	s_sub_u32 s44, s42, s49
	s_subb_u32 s45, s43, 0
	v_mad_u64_u32 v[22:23], s[42:43], s44, v32, v[6:7]
	s_mul_i32 s42, s44, s29
	s_mul_i32 s45, s45, s28
	s_add_i32 s45, s42, s45
	v_mad_u64_u32 v[24:25], s[42:43], s44, v32, v[0:1]
	v_add_u32_e32 v25, s45, v25
	v_mul_lo_u32 v26, s14, v25
	v_mul_lo_u32 v27, s15, v24
	v_mad_u64_u32 v[24:25], s[42:43], s14, v24, v[10:11]
	v_add_u32_e32 v23, s45, v23
	v_add3_u32 v25, v27, v25, v26
	s_mov_b64 s[42:43], 0
	v_mov_b64_e32 v[26:27], v[18:19]
	s_branch .LBB17_23
.LBB17_20:                              ;   in Loop: Header=BB17_23 Depth=3
	s_or_b64 exec, exec, s[46:47]
.LBB17_21:                              ;   in Loop: Header=BB17_23 Depth=3
	s_or_b64 exec, exec, s[44:45]
.LBB17_22:                              ;   in Loop: Header=BB17_23 Depth=3
	s_waitcnt vmcnt(0)
	ds_write_b32 v34, v37
	s_waitcnt lgkmcnt(0)
	s_barrier
	ds_read2_b32 v[54:55], v30 offset1:32
	ds_read_b128 v[38:41], v31 offset:4096
	ds_read_b128 v[42:45], v31 offset:4112
	;; [unrolled: 1-line block ×4, first 2 shown]
	ds_read2_b32 v[56:57], v30 offset0:64 offset1:96
	s_waitcnt lgkmcnt(4)
	v_mul_lo_u32 v37, v38, v54
	v_mul_lo_u32 v38, v39, v55
	v_add3_u32 v38, v37, v36, v38
	ds_read2_b32 v[36:37], v30 offset0:128 offset1:160
	s_waitcnt lgkmcnt(1)
	v_mul_lo_u32 v39, v40, v56
	v_mul_lo_u32 v40, v41, v57
	v_add3_u32 v40, v38, v39, v40
	;; [unrolled: 5-line block ×3, first 2 shown]
	ds_read2_b32 v[36:37], v35 offset1:32
	s_waitcnt lgkmcnt(1)
	v_mul_lo_u32 v38, v44, v38
	v_mul_lo_u32 v39, v45, v39
	v_add3_u32 v40, v40, v38, v39
	ds_read2_b32 v[38:39], v35 offset0:64 offset1:96
	s_waitcnt lgkmcnt(1)
	v_mul_lo_u32 v36, v46, v36
	v_mul_lo_u32 v37, v47, v37
	v_add3_u32 v42, v40, v36, v37
	ds_read2_b32 v[36:37], v35 offset0:128 offset1:160
	s_waitcnt lgkmcnt(1)
	v_mul_lo_u32 v38, v48, v38
	v_mul_lo_u32 v39, v49, v39
	ds_read2_b32 v[40:41], v35 offset0:192 offset1:224
	v_add3_u32 v38, v42, v38, v39
	s_waitcnt lgkmcnt(1)
	v_mul_lo_u32 v36, v50, v36
	v_mul_lo_u32 v37, v51, v37
	v_add_u32_e32 v48, 0x800, v30
	v_add3_u32 v42, v38, v36, v37
	ds_read2_b32 v[44:45], v48 offset1:32
	ds_read_b128 v[36:39], v31 offset:4160
	s_waitcnt lgkmcnt(2)
	v_mul_lo_u32 v40, v52, v40
	v_mul_lo_u32 v41, v53, v41
	v_add3_u32 v49, v42, v40, v41
	ds_read2_b32 v[46:47], v48 offset0:64 offset1:96
	ds_read_b128 v[40:43], v31 offset:4176
	s_waitcnt lgkmcnt(2)
	v_mul_lo_u32 v36, v36, v44
	v_mul_lo_u32 v37, v37, v45
	v_add3_u32 v49, v49, v36, v37
	ds_read2_b32 v[36:37], v48 offset0:128 offset1:160
	ds_read2_b32 v[44:45], v48 offset0:192 offset1:224
	s_waitcnt lgkmcnt(3)
	v_mul_lo_u32 v38, v38, v46
	v_mul_lo_u32 v39, v39, v47
	v_add3_u32 v38, v49, v38, v39
	s_waitcnt lgkmcnt(1)
	v_mul_lo_u32 v37, v41, v37
	v_mul_lo_u32 v36, v40, v36
	v_add_u32_e32 v48, 0xc00, v30
	v_add3_u32 v40, v38, v36, v37
	ds_read2_b32 v[46:47], v48 offset1:32
	ds_read_b128 v[36:39], v31 offset:4192
	s_waitcnt lgkmcnt(2)
	v_mul_lo_u32 v41, v43, v45
	v_mul_lo_u32 v42, v42, v44
	v_add3_u32 v49, v40, v42, v41
	ds_read2_b32 v[44:45], v48 offset0:64 offset1:96
	ds_read_b128 v[40:43], v31 offset:4208
	s_waitcnt lgkmcnt(2)
	v_mul_lo_u32 v37, v37, v47
	v_mul_lo_u32 v36, v36, v46
	v_add3_u32 v46, v49, v36, v37
	ds_read2_b32 v[36:37], v48 offset0:128 offset1:160
	s_waitcnt lgkmcnt(2)
	v_mul_lo_u32 v45, v39, v45
	v_mul_lo_u32 v44, v38, v44
	ds_read2_b32 v[38:39], v48 offset0:192 offset1:224
	v_add3_u32 v44, v46, v44, v45
	s_waitcnt lgkmcnt(1)
	v_mul_lo_u32 v37, v41, v37
	v_mul_lo_u32 v36, v40, v36
	v_add3_u32 v36, v44, v36, v37
	s_waitcnt lgkmcnt(0)
	v_mul_lo_u32 v37, v43, v39
	v_mul_lo_u32 v38, v42, v38
	s_add_u32 s42, s42, 32
	v_add3_u32 v36, v36, v38, v37
	s_addc_u32 s43, s43, 0
	v_mov_b64_e32 v[38:39], s[28:29]
	v_cmp_ge_i64_e32 vcc, s[42:43], v[38:39]
	v_lshl_add_u64 v[28:29], v[28:29], 0, 32
	v_lshl_add_u64 v[24:25], v[24:25], 0, s[8:9]
	;; [unrolled: 1-line block ×3, first 2 shown]
	s_barrier
	s_cbranch_vccnz .LBB17_18
.LBB17_23:                              ;   Parent Loop BB17_16 Depth=1
                                        ;     Parent Loop BB17_19 Depth=2
                                        ; =>    This Inner Loop Header: Depth=3
	s_mov_b64 s[44:45], -1
	s_and_b64 vcc, exec, s[6:7]
                                        ; implicit-def: $vgpr37
	s_cbranch_vccnz .LBB17_31
; %bb.24:                               ;   in Loop: Header=BB17_23 Depth=3
	s_andn2_b64 vcc, exec, s[44:45]
	s_cbranch_vccz .LBB17_36
.LBB17_25:                              ;   in Loop: Header=BB17_23 Depth=3
	s_and_b64 vcc, exec, s[26:27]
	s_waitcnt vmcnt(0)
	ds_write_b32 v33, v37
	s_cbranch_vccz .LBB17_41
.LBB17_26:                              ;   in Loop: Header=BB17_23 Depth=3
	v_mov_b32_e32 v37, 0
	s_and_saveexec_b64 s[44:45], s[4:5]
	s_cbranch_execz .LBB17_30
; %bb.27:                               ;   in Loop: Header=BB17_23 Depth=3
	v_lshl_add_u64 v[38:39], v[2:3], 0, s[42:43]
	v_cmp_gt_i64_e32 vcc, s[28:29], v[38:39]
	v_mov_b32_e32 v37, 0
	s_and_saveexec_b64 s[46:47], vcc
	s_cbranch_execz .LBB17_29
; %bb.28:                               ;   in Loop: Header=BB17_23 Depth=3
	global_load_sbyte v37, v[26:27], off
.LBB17_29:                              ;   in Loop: Header=BB17_23 Depth=3
	s_or_b64 exec, exec, s[46:47]
.LBB17_30:                              ;   in Loop: Header=BB17_23 Depth=3
	s_or_b64 exec, exec, s[44:45]
	s_cbranch_execnz .LBB17_22
	s_branch .LBB17_42
.LBB17_31:                              ;   in Loop: Header=BB17_23 Depth=3
	v_mov_b32_e32 v37, 0
	s_and_saveexec_b64 s[44:45], s[0:1]
	s_cbranch_execz .LBB17_35
; %bb.32:                               ;   in Loop: Header=BB17_23 Depth=3
	v_cmp_gt_i64_e32 vcc, s[28:29], v[28:29]
	v_mov_b32_e32 v37, 0
	s_and_saveexec_b64 s[46:47], vcc
	s_cbranch_execz .LBB17_34
; %bb.33:                               ;   in Loop: Header=BB17_23 Depth=3
	global_load_sbyte v37, v[24:25], off
.LBB17_34:                              ;   in Loop: Header=BB17_23 Depth=3
	s_or_b64 exec, exec, s[46:47]
.LBB17_35:                              ;   in Loop: Header=BB17_23 Depth=3
	s_or_b64 exec, exec, s[44:45]
	s_cbranch_execnz .LBB17_25
.LBB17_36:                              ;   in Loop: Header=BB17_23 Depth=3
	s_waitcnt vmcnt(0)
	v_mov_b32_e32 v37, 0
	s_and_saveexec_b64 s[44:45], s[0:1]
	s_cbranch_execz .LBB17_40
; %bb.37:                               ;   in Loop: Header=BB17_23 Depth=3
	v_cmp_gt_i64_e32 vcc, s[28:29], v[28:29]
	v_mov_b32_e32 v37, 0
	s_and_saveexec_b64 s[46:47], vcc
	s_cbranch_execz .LBB17_39
; %bb.38:                               ;   in Loop: Header=BB17_23 Depth=3
	v_lshl_add_u64 v[38:39], v[22:23], 0, v[28:29]
	global_load_sbyte v37, v[38:39], off
.LBB17_39:                              ;   in Loop: Header=BB17_23 Depth=3
	s_or_b64 exec, exec, s[46:47]
.LBB17_40:                              ;   in Loop: Header=BB17_23 Depth=3
	s_or_b64 exec, exec, s[44:45]
	s_and_b64 vcc, exec, s[26:27]
	s_waitcnt vmcnt(0)
	ds_write_b32 v33, v37
	s_cbranch_vccnz .LBB17_26
.LBB17_41:                              ;   in Loop: Header=BB17_23 Depth=3
                                        ; implicit-def: $vgpr37
.LBB17_42:                              ;   in Loop: Header=BB17_23 Depth=3
	s_waitcnt vmcnt(0)
	v_mov_b32_e32 v37, 0
	s_and_saveexec_b64 s[44:45], s[4:5]
	s_cbranch_execz .LBB17_21
; %bb.43:                               ;   in Loop: Header=BB17_23 Depth=3
	v_lshl_add_u64 v[38:39], v[2:3], 0, s[42:43]
	v_cmp_gt_i64_e32 vcc, s[28:29], v[38:39]
	v_mov_b32_e32 v37, 0
	s_and_saveexec_b64 s[46:47], vcc
	s_cbranch_execz .LBB17_20
; %bb.44:                               ;   in Loop: Header=BB17_23 Depth=3
	v_lshl_add_u64 v[38:39], v[20:21], 0, s[42:43]
	global_load_sbyte v37, v[38:39], off
	s_branch .LBB17_20
.LBB17_45:                              ;   in Loop: Header=BB17_16 Depth=1
	v_cmp_gt_i64_e32 vcc, s[28:29], v[16:17]
	s_and_b64 s[40:41], s[34:35], vcc
	s_and_saveexec_b64 s[4:5], s[40:41]
	s_cbranch_execz .LBB17_15
; %bb.46:                               ;   in Loop: Header=BB17_16 Depth=1
	v_lshl_add_u64 v[16:17], v[16:17], 0, s[30:31]
	s_mov_b64 s[40:41], -1
	s_and_b64 vcc, exec, s[36:37]
	s_cbranch_vccz .LBB17_52
; %bb.47:                               ;   in Loop: Header=BB17_16 Depth=1
	s_and_b64 vcc, exec, s[20:21]
	s_cbranch_vccz .LBB17_49
; %bb.48:                               ;   in Loop: Header=BB17_16 Depth=1
	v_mul_lo_u32 v20, v17, s10
	v_mul_lo_u32 v21, v16, s11
	v_mad_u64_u32 v[18:19], s[40:41], v16, s10, 0
	v_add3_u32 v19, v19, v21, v20
	v_lshl_add_u64 v[18:19], v[18:19], 2, v[4:5]
	global_load_dword v21, v[18:19], off
	v_mul_lo_u32 v20, v36, s33
	s_waitcnt vmcnt(0)
	v_mad_u64_u32 v[20:21], s[40:41], v21, s48, v[20:21]
	global_store_dword v[18:19], v20, off
	s_mov_b64 s[40:41], 0
.LBB17_49:                              ;   in Loop: Header=BB17_16 Depth=1
	s_andn2_b64 vcc, exec, s[40:41]
	s_cbranch_vccnz .LBB17_51
; %bb.50:                               ;   in Loop: Header=BB17_16 Depth=1
	v_lshl_add_u64 v[18:19], v[16:17], 2, v[8:9]
	global_load_dword v21, v[18:19], off
	v_mul_lo_u32 v20, v36, s33
	s_waitcnt vmcnt(0)
	v_mad_u64_u32 v[20:21], s[40:41], v21, s48, v[20:21]
	global_store_dword v[18:19], v20, off
.LBB17_51:                              ;   in Loop: Header=BB17_16 Depth=1
	s_mov_b64 s[40:41], 0
.LBB17_52:                              ;   in Loop: Header=BB17_16 Depth=1
	s_andn2_b64 vcc, exec, s[40:41]
	s_cbranch_vccnz .LBB17_15
; %bb.53:                               ;   in Loop: Header=BB17_16 Depth=1
	v_mul_lo_u32 v18, v36, s33
	s_mov_b64 s[40:41], -1
	s_and_b64 vcc, exec, s[20:21]
	s_cbranch_vccz .LBB17_55
; %bb.54:                               ;   in Loop: Header=BB17_16 Depth=1
	v_mul_lo_u32 v19, v17, s10
	v_mul_lo_u32 v22, v16, s11
	v_mad_u64_u32 v[20:21], s[40:41], v16, s10, 0
	v_add3_u32 v21, v21, v22, v19
	v_lshl_add_u64 v[20:21], v[20:21], 2, v[4:5]
	global_store_dword v[20:21], v18, off
	s_mov_b64 s[40:41], 0
.LBB17_55:                              ;   in Loop: Header=BB17_16 Depth=1
	s_andn2_b64 vcc, exec, s[40:41]
	s_cbranch_vccnz .LBB17_15
; %bb.56:                               ;   in Loop: Header=BB17_16 Depth=1
	v_lshl_add_u64 v[16:17], v[16:17], 2, v[8:9]
	global_store_dword v[16:17], v18, off
	s_branch .LBB17_15
.LBB17_57:
	s_endpgm
	.section	.rodata,"a",@progbits
	.p2align	6, 0x0
	.amdhsa_kernel _ZN9rocsparseL29bsrmm_general_blockdim_kernelILj32ELj32EllaaiiEEvb20rocsparse_direction_T2_S2_llNS_24const_host_device_scalarIT6_EEPKT1_PKS2_PKT3_S2_PKT4_llS5_PT5_ll16rocsparse_order_21rocsparse_index_base_b
		.amdhsa_group_segment_fixed_size 8192
		.amdhsa_private_segment_fixed_size 0
		.amdhsa_kernarg_size 148
		.amdhsa_user_sgpr_count 2
		.amdhsa_user_sgpr_dispatch_ptr 0
		.amdhsa_user_sgpr_queue_ptr 0
		.amdhsa_user_sgpr_kernarg_segment_ptr 1
		.amdhsa_user_sgpr_dispatch_id 0
		.amdhsa_user_sgpr_kernarg_preload_length 0
		.amdhsa_user_sgpr_kernarg_preload_offset 0
		.amdhsa_user_sgpr_private_segment_size 0
		.amdhsa_uses_dynamic_stack 0
		.amdhsa_enable_private_segment 0
		.amdhsa_system_sgpr_workgroup_id_x 1
		.amdhsa_system_sgpr_workgroup_id_y 1
		.amdhsa_system_sgpr_workgroup_id_z 0
		.amdhsa_system_sgpr_workgroup_info 0
		.amdhsa_system_vgpr_workitem_id 1
		.amdhsa_next_free_vgpr 58
		.amdhsa_next_free_sgpr 50
		.amdhsa_accum_offset 60
		.amdhsa_reserve_vcc 1
		.amdhsa_float_round_mode_32 0
		.amdhsa_float_round_mode_16_64 0
		.amdhsa_float_denorm_mode_32 3
		.amdhsa_float_denorm_mode_16_64 3
		.amdhsa_dx10_clamp 1
		.amdhsa_ieee_mode 1
		.amdhsa_fp16_overflow 0
		.amdhsa_tg_split 0
		.amdhsa_exception_fp_ieee_invalid_op 0
		.amdhsa_exception_fp_denorm_src 0
		.amdhsa_exception_fp_ieee_div_zero 0
		.amdhsa_exception_fp_ieee_overflow 0
		.amdhsa_exception_fp_ieee_underflow 0
		.amdhsa_exception_fp_ieee_inexact 0
		.amdhsa_exception_int_div_zero 0
	.end_amdhsa_kernel
	.section	.text._ZN9rocsparseL29bsrmm_general_blockdim_kernelILj32ELj32EllaaiiEEvb20rocsparse_direction_T2_S2_llNS_24const_host_device_scalarIT6_EEPKT1_PKS2_PKT3_S2_PKT4_llS5_PT5_ll16rocsparse_order_21rocsparse_index_base_b,"axG",@progbits,_ZN9rocsparseL29bsrmm_general_blockdim_kernelILj32ELj32EllaaiiEEvb20rocsparse_direction_T2_S2_llNS_24const_host_device_scalarIT6_EEPKT1_PKS2_PKT3_S2_PKT4_llS5_PT5_ll16rocsparse_order_21rocsparse_index_base_b,comdat
.Lfunc_end17:
	.size	_ZN9rocsparseL29bsrmm_general_blockdim_kernelILj32ELj32EllaaiiEEvb20rocsparse_direction_T2_S2_llNS_24const_host_device_scalarIT6_EEPKT1_PKS2_PKT3_S2_PKT4_llS5_PT5_ll16rocsparse_order_21rocsparse_index_base_b, .Lfunc_end17-_ZN9rocsparseL29bsrmm_general_blockdim_kernelILj32ELj32EllaaiiEEvb20rocsparse_direction_T2_S2_llNS_24const_host_device_scalarIT6_EEPKT1_PKS2_PKT3_S2_PKT4_llS5_PT5_ll16rocsparse_order_21rocsparse_index_base_b
                                        ; -- End function
	.set _ZN9rocsparseL29bsrmm_general_blockdim_kernelILj32ELj32EllaaiiEEvb20rocsparse_direction_T2_S2_llNS_24const_host_device_scalarIT6_EEPKT1_PKS2_PKT3_S2_PKT4_llS5_PT5_ll16rocsparse_order_21rocsparse_index_base_b.num_vgpr, 58
	.set _ZN9rocsparseL29bsrmm_general_blockdim_kernelILj32ELj32EllaaiiEEvb20rocsparse_direction_T2_S2_llNS_24const_host_device_scalarIT6_EEPKT1_PKS2_PKT3_S2_PKT4_llS5_PT5_ll16rocsparse_order_21rocsparse_index_base_b.num_agpr, 0
	.set _ZN9rocsparseL29bsrmm_general_blockdim_kernelILj32ELj32EllaaiiEEvb20rocsparse_direction_T2_S2_llNS_24const_host_device_scalarIT6_EEPKT1_PKS2_PKT3_S2_PKT4_llS5_PT5_ll16rocsparse_order_21rocsparse_index_base_b.numbered_sgpr, 50
	.set _ZN9rocsparseL29bsrmm_general_blockdim_kernelILj32ELj32EllaaiiEEvb20rocsparse_direction_T2_S2_llNS_24const_host_device_scalarIT6_EEPKT1_PKS2_PKT3_S2_PKT4_llS5_PT5_ll16rocsparse_order_21rocsparse_index_base_b.num_named_barrier, 0
	.set _ZN9rocsparseL29bsrmm_general_blockdim_kernelILj32ELj32EllaaiiEEvb20rocsparse_direction_T2_S2_llNS_24const_host_device_scalarIT6_EEPKT1_PKS2_PKT3_S2_PKT4_llS5_PT5_ll16rocsparse_order_21rocsparse_index_base_b.private_seg_size, 0
	.set _ZN9rocsparseL29bsrmm_general_blockdim_kernelILj32ELj32EllaaiiEEvb20rocsparse_direction_T2_S2_llNS_24const_host_device_scalarIT6_EEPKT1_PKS2_PKT3_S2_PKT4_llS5_PT5_ll16rocsparse_order_21rocsparse_index_base_b.uses_vcc, 1
	.set _ZN9rocsparseL29bsrmm_general_blockdim_kernelILj32ELj32EllaaiiEEvb20rocsparse_direction_T2_S2_llNS_24const_host_device_scalarIT6_EEPKT1_PKS2_PKT3_S2_PKT4_llS5_PT5_ll16rocsparse_order_21rocsparse_index_base_b.uses_flat_scratch, 0
	.set _ZN9rocsparseL29bsrmm_general_blockdim_kernelILj32ELj32EllaaiiEEvb20rocsparse_direction_T2_S2_llNS_24const_host_device_scalarIT6_EEPKT1_PKS2_PKT3_S2_PKT4_llS5_PT5_ll16rocsparse_order_21rocsparse_index_base_b.has_dyn_sized_stack, 0
	.set _ZN9rocsparseL29bsrmm_general_blockdim_kernelILj32ELj32EllaaiiEEvb20rocsparse_direction_T2_S2_llNS_24const_host_device_scalarIT6_EEPKT1_PKS2_PKT3_S2_PKT4_llS5_PT5_ll16rocsparse_order_21rocsparse_index_base_b.has_recursion, 0
	.set _ZN9rocsparseL29bsrmm_general_blockdim_kernelILj32ELj32EllaaiiEEvb20rocsparse_direction_T2_S2_llNS_24const_host_device_scalarIT6_EEPKT1_PKS2_PKT3_S2_PKT4_llS5_PT5_ll16rocsparse_order_21rocsparse_index_base_b.has_indirect_call, 0
	.section	.AMDGPU.csdata,"",@progbits
; Kernel info:
; codeLenInByte = 2336
; TotalNumSgprs: 56
; NumVgprs: 58
; NumAgprs: 0
; TotalNumVgprs: 58
; ScratchSize: 0
; MemoryBound: 0
; FloatMode: 240
; IeeeMode: 1
; LDSByteSize: 8192 bytes/workgroup (compile time only)
; SGPRBlocks: 6
; VGPRBlocks: 7
; NumSGPRsForWavesPerEU: 56
; NumVGPRsForWavesPerEU: 58
; AccumOffset: 60
; Occupancy: 8
; WaveLimiterHint : 1
; COMPUTE_PGM_RSRC2:SCRATCH_EN: 0
; COMPUTE_PGM_RSRC2:USER_SGPR: 2
; COMPUTE_PGM_RSRC2:TRAP_HANDLER: 0
; COMPUTE_PGM_RSRC2:TGID_X_EN: 1
; COMPUTE_PGM_RSRC2:TGID_Y_EN: 1
; COMPUTE_PGM_RSRC2:TGID_Z_EN: 0
; COMPUTE_PGM_RSRC2:TIDIG_COMP_CNT: 1
; COMPUTE_PGM_RSRC3_GFX90A:ACCUM_OFFSET: 14
; COMPUTE_PGM_RSRC3_GFX90A:TG_SPLIT: 0
	.section	.text._ZN9rocsparseL29bsrmm_general_blockdim_kernelILj32ELj32EiiaaffEEvb20rocsparse_direction_T2_S2_llNS_24const_host_device_scalarIT6_EEPKT1_PKS2_PKT3_S2_PKT4_llS5_PT5_ll16rocsparse_order_21rocsparse_index_base_b,"axG",@progbits,_ZN9rocsparseL29bsrmm_general_blockdim_kernelILj32ELj32EiiaaffEEvb20rocsparse_direction_T2_S2_llNS_24const_host_device_scalarIT6_EEPKT1_PKS2_PKT3_S2_PKT4_llS5_PT5_ll16rocsparse_order_21rocsparse_index_base_b,comdat
	.globl	_ZN9rocsparseL29bsrmm_general_blockdim_kernelILj32ELj32EiiaaffEEvb20rocsparse_direction_T2_S2_llNS_24const_host_device_scalarIT6_EEPKT1_PKS2_PKT3_S2_PKT4_llS5_PT5_ll16rocsparse_order_21rocsparse_index_base_b ; -- Begin function _ZN9rocsparseL29bsrmm_general_blockdim_kernelILj32ELj32EiiaaffEEvb20rocsparse_direction_T2_S2_llNS_24const_host_device_scalarIT6_EEPKT1_PKS2_PKT3_S2_PKT4_llS5_PT5_ll16rocsparse_order_21rocsparse_index_base_b
	.p2align	8
	.type	_ZN9rocsparseL29bsrmm_general_blockdim_kernelILj32ELj32EiiaaffEEvb20rocsparse_direction_T2_S2_llNS_24const_host_device_scalarIT6_EEPKT1_PKS2_PKT3_S2_PKT4_llS5_PT5_ll16rocsparse_order_21rocsparse_index_base_b,@function
_ZN9rocsparseL29bsrmm_general_blockdim_kernelILj32ELj32EiiaaffEEvb20rocsparse_direction_T2_S2_llNS_24const_host_device_scalarIT6_EEPKT1_PKS2_PKT3_S2_PKT4_llS5_PT5_ll16rocsparse_order_21rocsparse_index_base_b: ; @_ZN9rocsparseL29bsrmm_general_blockdim_kernelILj32ELj32EiiaaffEEvb20rocsparse_direction_T2_S2_llNS_24const_host_device_scalarIT6_EEPKT1_PKS2_PKT3_S2_PKT4_llS5_PT5_ll16rocsparse_order_21rocsparse_index_base_b
; %bb.0:
	s_load_dwordx4 s[8:11], s[0:1], 0x80
	s_mov_b32 s4, s3
	s_waitcnt lgkmcnt(0)
	s_bitcmp1_b32 s10, 0
	s_load_dwordx2 s[6:7], s[0:1], 0x20
	s_load_dwordx2 s[10:11], s[0:1], 0x60
	s_cselect_b64 s[14:15], -1, 0
	s_xor_b64 s[12:13], s[14:15], -1
	s_and_b64 vcc, exec, s[14:15]
	s_cbranch_vccnz .LBB18_2
; %bb.1:
	s_waitcnt lgkmcnt(0)
	s_load_dword s6, s[6:7], 0x0
.LBB18_2:
	s_andn2_b64 vcc, exec, s[12:13]
	s_cbranch_vccnz .LBB18_4
; %bb.3:
	s_waitcnt lgkmcnt(0)
	s_load_dword s10, s[10:11], 0x0
.LBB18_4:
	s_waitcnt lgkmcnt(0)
	v_cmp_eq_f32_e64 s[12:13], s6, 0
	v_cmp_eq_f32_e64 s[14:15], s10, 1.0
	s_and_b64 s[12:13], s[12:13], s[14:15]
	s_mov_b32 s7, 0
	s_and_b64 vcc, exec, s[12:13]
	s_cbranch_vccnz .LBB18_55
; %bb.5:
	s_load_dwordx4 s[24:27], s[0:1], 0x0
	s_load_dwordx2 s[12:13], s[0:1], 0x28
	s_waitcnt lgkmcnt(0)
	s_cmp_lt_i32 s2, s26
	s_cselect_b64 s[30:31], -1, 0
	s_cmp_ge_i32 s2, s26
	s_cbranch_scc0 .LBB18_8
; %bb.6:
	s_andn2_b64 vcc, exec, s[30:31]
	s_mov_b32 s11, 0
	s_cbranch_vccz .LBB18_9
.LBB18_7:
	s_load_dword s33, s[0:1], 0x40
	s_waitcnt lgkmcnt(0)
	s_cmp_lt_i32 s33, 1
	s_cbranch_scc0 .LBB18_10
	s_branch .LBB18_55
.LBB18_8:
	s_ashr_i32 s3, s2, 31
	s_lshl_b64 s[14:15], s[2:3], 2
	s_add_u32 s14, s12, s14
	s_addc_u32 s15, s13, s15
	s_load_dword s3, s[14:15], 0x0
	s_waitcnt lgkmcnt(0)
	s_sub_i32 s7, s3, s9
	s_andn2_b64 vcc, exec, s[30:31]
	s_mov_b32 s11, 0
	s_cbranch_vccnz .LBB18_7
.LBB18_9:
	s_ashr_i32 s3, s2, 31
	s_lshl_b64 s[14:15], s[2:3], 2
	s_add_u32 s12, s12, s14
	s_addc_u32 s13, s13, s15
	s_load_dword s3, s[12:13], 0x4
	s_waitcnt lgkmcnt(0)
	s_sub_i32 s11, s3, s9
	s_load_dword s33, s[0:1], 0x40
	s_waitcnt lgkmcnt(0)
	s_cmp_lt_i32 s33, 1
	s_cbranch_scc1 .LBB18_55
.LBB18_10:
	s_load_dwordx4 s[12:15], s[0:1], 0x68
	s_load_dwordx4 s[16:19], s[0:1], 0x30
	;; [unrolled: 1-line block ×3, first 2 shown]
	v_and_b32_e32 v1, 0x3ff, v0
	v_bfe_u32 v0, v0, 10, 10
	v_lshl_add_u32 v8, s4, 5, v0
	s_bitcmp1_b32 s24, 0
	v_ashrrev_i32_e32 v9, 31, v8
	s_waitcnt lgkmcnt(0)
	v_mov_b64_e32 v[4:5], s[20:21]
	s_cselect_b64 s[0:1], -1, 0
	v_mul_lo_u32 v6, s22, v9
	v_mul_lo_u32 v7, s23, v8
	v_mad_u64_u32 v[4:5], s[4:5], s22, v8, v[4:5]
	s_xor_b64 s[28:29], s[0:1], -1
	v_cmp_gt_i32_e64 s[0:1], s27, v8
	v_lshl_add_u64 v[2:3], s[20:21], 0, v[8:9]
	v_add3_u32 v5, v7, v5, v6
	v_lshl_add_u64 v[6:7], v[8:9], 2, s[12:13]
	v_mul_lo_u32 v10, s14, v9
	v_mul_lo_u32 v11, s15, v8
	v_mad_u64_u32 v[8:9], s[4:5], s14, v8, 0
	s_cmp_lt_i32 s7, s11
	s_mul_i32 s4, s7, s33
	s_mul_i32 s42, s33, s2
	s_cselect_b64 s[2:3], -1, 0
	s_cmp_lg_u32 s25, 0
	v_add3_u32 v9, v9, v10, v11
	v_add_u32_e32 v10, s4, v1
	v_lshlrev_b32_e32 v16, 2, v1
	s_cselect_b64 s[20:21], -1, 0
	s_and_b64 s[24:25], s[30:31], s[0:1]
	v_mad_u64_u32 v[10:11], s[4:5], s33, v10, v[0:1]
	v_or_b32_e32 v12, 0x1000, v16
	v_lshlrev_b32_e32 v17, 7, v0
	s_cmp_lg_u32 s8, 1
	v_cndmask_b32_e64 v11, 0, 1, s[2:3]
	s_mov_b32 s43, 0
	v_cmp_neq_f32_e64 s[26:27], s10, 0
	s_cselect_b64 s[30:31], -1, 0
	v_lshl_add_u64 v[8:9], v[8:9], 2, s[12:13]
	s_lshl_b32 s8, s33, 5
	s_mul_i32 s44, s33, s33
	v_cmp_ne_u32_e64 s[2:3], 1, v11
	v_add_u32_e32 v11, v12, v17
	v_add_u32_e32 v18, v16, v17
	;; [unrolled: 1-line block ×5, first 2 shown]
	s_branch .LBB18_12
.LBB18_11:                              ;   in Loop: Header=BB18_12 Depth=1
	s_or_b64 exec, exec, s[4:5]
	s_add_i32 s43, s43, 32
	s_cmp_lt_i32 s43, s33
	v_add_u32_e32 v10, s8, v10
	s_cbranch_scc0 .LBB18_55
.LBB18_12:                              ; =>This Loop Header: Depth=1
                                        ;     Child Loop BB18_15 Depth 2
                                        ;       Child Loop BB18_17 Depth 3
	v_add_u32_e32 v12, s43, v1
	v_mov_b32_e32 v22, 0
	s_and_b64 vcc, exec, s[2:3]
	v_cmp_gt_i32_e64 s[4:5], s33, v12
	s_cbranch_vccnz .LBB18_43
; %bb.13:                               ;   in Loop: Header=BB18_12 Depth=1
	v_mov_b32_e32 v22, 0
	v_mov_b32_e32 v13, v10
	s_mov_b32 s12, s7
	s_branch .LBB18_15
.LBB18_14:                              ;   in Loop: Header=BB18_15 Depth=2
	s_add_i32 s12, s12, 1
	s_cmp_ge_i32 s12, s11
	v_add_u32_e32 v13, s44, v13
	s_cbranch_scc1 .LBB18_43
.LBB18_15:                              ;   Parent Loop BB18_12 Depth=1
                                        ; =>  This Loop Header: Depth=2
                                        ;       Child Loop BB18_17 Depth 3
	s_ashr_i32 s13, s12, 31
	s_lshl_b64 s[34:35], s[12:13], 2
	s_add_u32 s34, s16, s34
	s_addc_u32 s35, s17, s35
	s_load_dword s34, s[34:35], 0x0
	s_mul_i32 s13, s12, s33
	s_mov_b32 s45, 0
	s_waitcnt lgkmcnt(0)
	s_sub_i32 s34, s34, s9
	s_mul_i32 s34, s34, s33
	v_add_u32_e32 v23, s34, v1
	s_branch .LBB18_17
.LBB18_16:                              ;   in Loop: Header=BB18_17 Depth=3
	s_or_b64 exec, exec, s[36:37]
	ds_write_b32 v18, v15
	s_waitcnt lgkmcnt(0)
	s_barrier
	ds_read2_b32 v[14:15], v16 offset1:32
	ds_read_b128 v[24:27], v17 offset:4096
	ds_read_b128 v[28:31], v17 offset:4112
	ds_read2_b32 v[40:41], v16 offset0:64 offset1:96
	ds_read_b128 v[32:35], v17 offset:4128
	ds_read_b128 v[36:39], v17 offset:4144
	ds_read2_b32 v[42:43], v16 offset0:128 offset1:160
	s_waitcnt lgkmcnt(5)
	v_fmac_f32_e32 v22, v14, v24
	v_fmac_f32_e32 v22, v15, v25
	ds_read2_b32 v[14:15], v16 offset0:192 offset1:224
	s_waitcnt lgkmcnt(4)
	v_fmac_f32_e32 v22, v40, v26
	v_fmac_f32_e32 v22, v41, v27
	ds_read2_b32 v[24:25], v19 offset1:32
	s_waitcnt lgkmcnt(2)
	v_fmac_f32_e32 v22, v42, v28
	v_fmac_f32_e32 v22, v43, v29
	ds_read2_b32 v[26:27], v19 offset0:64 offset1:96
	s_waitcnt lgkmcnt(2)
	v_fmac_f32_e32 v22, v14, v30
	v_fmac_f32_e32 v22, v15, v31
	ds_read2_b32 v[14:15], v19 offset0:128 offset1:160
	s_waitcnt lgkmcnt(2)
	v_fmac_f32_e32 v22, v24, v32
	v_fmac_f32_e32 v22, v25, v33
	s_waitcnt lgkmcnt(1)
	v_fmac_f32_e32 v22, v26, v34
	ds_read2_b32 v[28:29], v19 offset0:192 offset1:224
	v_fmac_f32_e32 v22, v27, v35
	s_waitcnt lgkmcnt(1)
	v_fmac_f32_e32 v22, v14, v36
	v_fmac_f32_e32 v22, v15, v37
	ds_read2_b32 v[14:15], v20 offset1:32
	ds_read_b128 v[24:27], v17 offset:4160
	s_waitcnt lgkmcnt(2)
	v_fmac_f32_e32 v22, v28, v38
	v_fmac_f32_e32 v22, v29, v39
	ds_read2_b32 v[32:33], v20 offset0:64 offset1:96
	ds_read_b128 v[28:31], v17 offset:4176
	ds_read2_b32 v[34:35], v20 offset0:128 offset1:160
	s_waitcnt lgkmcnt(3)
	v_fmac_f32_e32 v22, v14, v24
	v_fmac_f32_e32 v22, v15, v25
	ds_read2_b32 v[14:15], v20 offset0:192 offset1:224
	s_waitcnt lgkmcnt(3)
	v_fmac_f32_e32 v22, v32, v26
	v_fmac_f32_e32 v22, v33, v27
	s_waitcnt lgkmcnt(1)
	v_fmac_f32_e32 v22, v34, v28
	ds_read2_b32 v[32:33], v21 offset1:32
	ds_read_b128 v[24:27], v17 offset:4192
	v_fmac_f32_e32 v22, v35, v29
	s_waitcnt lgkmcnt(2)
	v_fmac_f32_e32 v22, v14, v30
	v_fmac_f32_e32 v22, v15, v31
	ds_read2_b32 v[14:15], v21 offset0:64 offset1:96
	ds_read_b128 v[28:31], v17 offset:4208
	ds_read2_b32 v[34:35], v21 offset0:128 offset1:160
	s_waitcnt lgkmcnt(3)
	v_fmac_f32_e32 v22, v32, v24
	v_fmac_f32_e32 v22, v33, v25
	ds_read2_b32 v[24:25], v21 offset0:192 offset1:224
	s_waitcnt lgkmcnt(3)
	v_fmac_f32_e32 v22, v14, v26
	v_fmac_f32_e32 v22, v15, v27
	s_waitcnt lgkmcnt(1)
	v_fmac_f32_e32 v22, v34, v28
	v_fmac_f32_e32 v22, v35, v29
	s_waitcnt lgkmcnt(0)
	v_fmac_f32_e32 v22, v24, v30
	s_add_i32 s45, s45, 32
	v_fmac_f32_e32 v22, v25, v31
	s_cmp_ge_i32 s45, s33
	s_barrier
	s_cbranch_scc1 .LBB18_14
.LBB18_17:                              ;   Parent Loop BB18_12 Depth=1
                                        ;     Parent Loop BB18_15 Depth=2
                                        ; =>    This Inner Loop Header: Depth=3
	s_mov_b64 s[34:35], -1
	s_and_b64 vcc, exec, s[28:29]
                                        ; implicit-def: $vgpr14
	s_cbranch_vccnz .LBB18_26
; %bb.18:                               ;   in Loop: Header=BB18_17 Depth=3
	s_andn2_b64 vcc, exec, s[34:35]
	s_cbranch_vccz .LBB18_31
.LBB18_19:                              ;   in Loop: Header=BB18_17 Depth=3
	s_and_b64 vcc, exec, s[20:21]
	ds_write_b32 v11, v14
	s_cbranch_vccz .LBB18_36
.LBB18_20:                              ;   in Loop: Header=BB18_17 Depth=3
	s_mov_b64 s[36:37], 0
	s_mov_b64 s[34:35], 0
                                        ; implicit-def: $vgpr14
	s_and_saveexec_b64 s[38:39], s[4:5]
	s_cbranch_execz .LBB18_24
; %bb.21:                               ;   in Loop: Header=BB18_17 Depth=3
	v_add_u32_e32 v15, s45, v0
	v_cmp_gt_i32_e32 vcc, s33, v15
                                        ; implicit-def: $vgpr14
	s_and_saveexec_b64 s[40:41], vcc
	s_xor_b64 s[40:41], exec, s[40:41]
; %bb.22:                               ;   in Loop: Header=BB18_17 Depth=3
	v_add_u32_e32 v14, s13, v15
	s_mov_b64 s[34:35], exec
	v_mad_u64_u32 v[14:15], s[46:47], v14, s33, v[12:13]
; %bb.23:                               ;   in Loop: Header=BB18_17 Depth=3
	s_or_b64 exec, exec, s[40:41]
	s_and_b64 s[34:35], s[34:35], exec
.LBB18_24:                              ;   in Loop: Header=BB18_17 Depth=3
	s_or_b64 exec, exec, s[38:39]
	s_and_b64 vcc, exec, s[36:37]
	s_cbranch_vccnz .LBB18_37
.LBB18_25:                              ;   in Loop: Header=BB18_17 Depth=3
	v_mov_b32_e32 v15, 0
	s_and_saveexec_b64 s[36:37], s[34:35]
	s_cbranch_execz .LBB18_16
	s_branch .LBB18_42
.LBB18_26:                              ;   in Loop: Header=BB18_17 Depth=3
	v_mov_b32_e32 v14, 0
	s_and_saveexec_b64 s[34:35], s[0:1]
	s_cbranch_execz .LBB18_30
; %bb.27:                               ;   in Loop: Header=BB18_17 Depth=3
	v_add_u32_e32 v14, s45, v1
	v_cmp_gt_i32_e32 vcc, s33, v14
	v_mov_b32_e32 v14, 0
	s_and_saveexec_b64 s[36:37], vcc
	s_cbranch_execz .LBB18_29
; %bb.28:                               ;   in Loop: Header=BB18_17 Depth=3
	v_add_u32_e32 v14, s45, v23
	v_ashrrev_i32_e32 v15, 31, v14
	v_mul_lo_u32 v24, s22, v15
	v_mul_lo_u32 v25, s23, v14
	v_mad_u64_u32 v[14:15], s[38:39], s22, v14, v[2:3]
	v_add3_u32 v15, v25, v15, v24
	global_load_sbyte v14, v[14:15], off
	s_waitcnt vmcnt(0)
	v_cvt_f32_i32_e32 v14, v14
.LBB18_29:                              ;   in Loop: Header=BB18_17 Depth=3
	s_or_b64 exec, exec, s[36:37]
.LBB18_30:                              ;   in Loop: Header=BB18_17 Depth=3
	s_or_b64 exec, exec, s[34:35]
	s_cbranch_execnz .LBB18_19
.LBB18_31:                              ;   in Loop: Header=BB18_17 Depth=3
	v_mov_b32_e32 v14, 0
	s_and_saveexec_b64 s[34:35], s[0:1]
	s_cbranch_execz .LBB18_35
; %bb.32:                               ;   in Loop: Header=BB18_17 Depth=3
	v_add_u32_e32 v14, s45, v1
	v_cmp_gt_i32_e32 vcc, s33, v14
	v_mov_b32_e32 v14, 0
	s_and_saveexec_b64 s[36:37], vcc
	s_cbranch_execz .LBB18_34
; %bb.33:                               ;   in Loop: Header=BB18_17 Depth=3
	v_add_u32_e32 v14, s45, v23
	v_ashrrev_i32_e32 v15, 31, v14
	v_lshl_add_u64 v[14:15], v[4:5], 0, v[14:15]
	global_load_sbyte v14, v[14:15], off
	s_waitcnt vmcnt(0)
	v_cvt_f32_i32_e32 v14, v14
.LBB18_34:                              ;   in Loop: Header=BB18_17 Depth=3
	s_or_b64 exec, exec, s[36:37]
.LBB18_35:                              ;   in Loop: Header=BB18_17 Depth=3
	s_or_b64 exec, exec, s[34:35]
	s_and_b64 vcc, exec, s[20:21]
	ds_write_b32 v11, v14
	s_cbranch_vccnz .LBB18_20
.LBB18_36:                              ;   in Loop: Header=BB18_17 Depth=3
	s_mov_b64 s[34:35], 0
                                        ; implicit-def: $vgpr14
	s_cbranch_execz .LBB18_25
.LBB18_37:                              ;   in Loop: Header=BB18_17 Depth=3
                                        ; implicit-def: $vgpr14
	s_and_saveexec_b64 s[36:37], s[4:5]
	s_cbranch_execz .LBB18_41
; %bb.38:                               ;   in Loop: Header=BB18_17 Depth=3
	v_add_u32_e32 v14, s45, v0
	v_cmp_gt_i32_e32 vcc, s33, v14
	s_mov_b64 s[38:39], s[34:35]
                                        ; implicit-def: $vgpr14
	s_and_saveexec_b64 s[40:41], vcc
; %bb.39:                               ;   in Loop: Header=BB18_17 Depth=3
	v_add_u32_e32 v14, s45, v13
	s_or_b64 s[38:39], s[34:35], exec
; %bb.40:                               ;   in Loop: Header=BB18_17 Depth=3
	s_or_b64 exec, exec, s[40:41]
	s_andn2_b64 s[34:35], s[34:35], exec
	s_and_b64 s[38:39], s[38:39], exec
	s_or_b64 s[34:35], s[34:35], s[38:39]
.LBB18_41:                              ;   in Loop: Header=BB18_17 Depth=3
	s_or_b64 exec, exec, s[36:37]
	v_mov_b32_e32 v15, 0
	s_and_saveexec_b64 s[36:37], s[34:35]
	s_cbranch_execz .LBB18_16
.LBB18_42:                              ;   in Loop: Header=BB18_17 Depth=3
	v_ashrrev_i32_e32 v15, 31, v14
	v_lshl_add_u64 v[14:15], s[18:19], 0, v[14:15]
	global_load_sbyte v14, v[14:15], off
	s_waitcnt vmcnt(0)
	v_cvt_f32_i32_e32 v15, v14
	s_branch .LBB18_16
.LBB18_43:                              ;   in Loop: Header=BB18_12 Depth=1
	v_cmp_gt_i32_e32 vcc, s33, v12
	s_and_b64 s[12:13], s[24:25], vcc
	s_and_saveexec_b64 s[4:5], s[12:13]
	s_cbranch_execz .LBB18_11
; %bb.44:                               ;   in Loop: Header=BB18_12 Depth=1
	v_add_u32_e32 v12, s42, v12
	s_and_b64 vcc, exec, s[26:27]
	v_ashrrev_i32_e32 v13, 31, v12
	s_mov_b64 s[12:13], -1
	s_cbranch_vccz .LBB18_50
; %bb.45:                               ;   in Loop: Header=BB18_12 Depth=1
	s_and_b64 vcc, exec, s[30:31]
	s_cbranch_vccz .LBB18_47
; %bb.46:                               ;   in Loop: Header=BB18_12 Depth=1
	v_mul_lo_u32 v23, s15, v12
	v_mul_lo_u32 v24, s14, v13
	v_mad_u64_u32 v[14:15], s[12:13], s14, v12, 0
	v_add3_u32 v15, v15, v24, v23
	v_lshl_add_u64 v[14:15], v[14:15], 2, v[6:7]
	global_load_dword v23, v[14:15], off
	v_mul_f32_e32 v24, s6, v22
	s_mov_b64 s[12:13], 0
	s_waitcnt vmcnt(0)
	v_fmac_f32_e32 v24, s10, v23
	global_store_dword v[14:15], v24, off
.LBB18_47:                              ;   in Loop: Header=BB18_12 Depth=1
	s_andn2_b64 vcc, exec, s[12:13]
	s_cbranch_vccnz .LBB18_49
; %bb.48:                               ;   in Loop: Header=BB18_12 Depth=1
	v_lshl_add_u64 v[14:15], v[12:13], 2, v[8:9]
	global_load_dword v23, v[14:15], off
	v_mul_f32_e32 v24, s6, v22
	s_waitcnt vmcnt(0)
	v_fmac_f32_e32 v24, s10, v23
	global_store_dword v[14:15], v24, off
.LBB18_49:                              ;   in Loop: Header=BB18_12 Depth=1
	s_mov_b64 s[12:13], 0
.LBB18_50:                              ;   in Loop: Header=BB18_12 Depth=1
	s_andn2_b64 vcc, exec, s[12:13]
	s_cbranch_vccnz .LBB18_11
; %bb.51:                               ;   in Loop: Header=BB18_12 Depth=1
	v_mul_f32_e32 v14, s6, v22
	s_mov_b64 s[12:13], -1
	s_and_b64 vcc, exec, s[30:31]
	s_cbranch_vccz .LBB18_53
; %bb.52:                               ;   in Loop: Header=BB18_12 Depth=1
	v_mul_lo_u32 v15, s15, v12
	v_mul_lo_u32 v24, s14, v13
	v_mad_u64_u32 v[22:23], s[12:13], s14, v12, 0
	v_add3_u32 v23, v23, v24, v15
	v_lshl_add_u64 v[22:23], v[22:23], 2, v[6:7]
	global_store_dword v[22:23], v14, off
	s_mov_b64 s[12:13], 0
.LBB18_53:                              ;   in Loop: Header=BB18_12 Depth=1
	s_andn2_b64 vcc, exec, s[12:13]
	s_cbranch_vccnz .LBB18_11
; %bb.54:                               ;   in Loop: Header=BB18_12 Depth=1
	v_lshl_add_u64 v[12:13], v[12:13], 2, v[8:9]
	global_store_dword v[12:13], v14, off
	s_branch .LBB18_11
.LBB18_55:
	s_endpgm
	.section	.rodata,"a",@progbits
	.p2align	6, 0x0
	.amdhsa_kernel _ZN9rocsparseL29bsrmm_general_blockdim_kernelILj32ELj32EiiaaffEEvb20rocsparse_direction_T2_S2_llNS_24const_host_device_scalarIT6_EEPKT1_PKS2_PKT3_S2_PKT4_llS5_PT5_ll16rocsparse_order_21rocsparse_index_base_b
		.amdhsa_group_segment_fixed_size 8192
		.amdhsa_private_segment_fixed_size 0
		.amdhsa_kernarg_size 140
		.amdhsa_user_sgpr_count 2
		.amdhsa_user_sgpr_dispatch_ptr 0
		.amdhsa_user_sgpr_queue_ptr 0
		.amdhsa_user_sgpr_kernarg_segment_ptr 1
		.amdhsa_user_sgpr_dispatch_id 0
		.amdhsa_user_sgpr_kernarg_preload_length 0
		.amdhsa_user_sgpr_kernarg_preload_offset 0
		.amdhsa_user_sgpr_private_segment_size 0
		.amdhsa_uses_dynamic_stack 0
		.amdhsa_enable_private_segment 0
		.amdhsa_system_sgpr_workgroup_id_x 1
		.amdhsa_system_sgpr_workgroup_id_y 1
		.amdhsa_system_sgpr_workgroup_id_z 0
		.amdhsa_system_sgpr_workgroup_info 0
		.amdhsa_system_vgpr_workitem_id 1
		.amdhsa_next_free_vgpr 44
		.amdhsa_next_free_sgpr 48
		.amdhsa_accum_offset 44
		.amdhsa_reserve_vcc 1
		.amdhsa_float_round_mode_32 0
		.amdhsa_float_round_mode_16_64 0
		.amdhsa_float_denorm_mode_32 3
		.amdhsa_float_denorm_mode_16_64 3
		.amdhsa_dx10_clamp 1
		.amdhsa_ieee_mode 1
		.amdhsa_fp16_overflow 0
		.amdhsa_tg_split 0
		.amdhsa_exception_fp_ieee_invalid_op 0
		.amdhsa_exception_fp_denorm_src 0
		.amdhsa_exception_fp_ieee_div_zero 0
		.amdhsa_exception_fp_ieee_overflow 0
		.amdhsa_exception_fp_ieee_underflow 0
		.amdhsa_exception_fp_ieee_inexact 0
		.amdhsa_exception_int_div_zero 0
	.end_amdhsa_kernel
	.section	.text._ZN9rocsparseL29bsrmm_general_blockdim_kernelILj32ELj32EiiaaffEEvb20rocsparse_direction_T2_S2_llNS_24const_host_device_scalarIT6_EEPKT1_PKS2_PKT3_S2_PKT4_llS5_PT5_ll16rocsparse_order_21rocsparse_index_base_b,"axG",@progbits,_ZN9rocsparseL29bsrmm_general_blockdim_kernelILj32ELj32EiiaaffEEvb20rocsparse_direction_T2_S2_llNS_24const_host_device_scalarIT6_EEPKT1_PKS2_PKT3_S2_PKT4_llS5_PT5_ll16rocsparse_order_21rocsparse_index_base_b,comdat
.Lfunc_end18:
	.size	_ZN9rocsparseL29bsrmm_general_blockdim_kernelILj32ELj32EiiaaffEEvb20rocsparse_direction_T2_S2_llNS_24const_host_device_scalarIT6_EEPKT1_PKS2_PKT3_S2_PKT4_llS5_PT5_ll16rocsparse_order_21rocsparse_index_base_b, .Lfunc_end18-_ZN9rocsparseL29bsrmm_general_blockdim_kernelILj32ELj32EiiaaffEEvb20rocsparse_direction_T2_S2_llNS_24const_host_device_scalarIT6_EEPKT1_PKS2_PKT3_S2_PKT4_llS5_PT5_ll16rocsparse_order_21rocsparse_index_base_b
                                        ; -- End function
	.set _ZN9rocsparseL29bsrmm_general_blockdim_kernelILj32ELj32EiiaaffEEvb20rocsparse_direction_T2_S2_llNS_24const_host_device_scalarIT6_EEPKT1_PKS2_PKT3_S2_PKT4_llS5_PT5_ll16rocsparse_order_21rocsparse_index_base_b.num_vgpr, 44
	.set _ZN9rocsparseL29bsrmm_general_blockdim_kernelILj32ELj32EiiaaffEEvb20rocsparse_direction_T2_S2_llNS_24const_host_device_scalarIT6_EEPKT1_PKS2_PKT3_S2_PKT4_llS5_PT5_ll16rocsparse_order_21rocsparse_index_base_b.num_agpr, 0
	.set _ZN9rocsparseL29bsrmm_general_blockdim_kernelILj32ELj32EiiaaffEEvb20rocsparse_direction_T2_S2_llNS_24const_host_device_scalarIT6_EEPKT1_PKS2_PKT3_S2_PKT4_llS5_PT5_ll16rocsparse_order_21rocsparse_index_base_b.numbered_sgpr, 48
	.set _ZN9rocsparseL29bsrmm_general_blockdim_kernelILj32ELj32EiiaaffEEvb20rocsparse_direction_T2_S2_llNS_24const_host_device_scalarIT6_EEPKT1_PKS2_PKT3_S2_PKT4_llS5_PT5_ll16rocsparse_order_21rocsparse_index_base_b.num_named_barrier, 0
	.set _ZN9rocsparseL29bsrmm_general_blockdim_kernelILj32ELj32EiiaaffEEvb20rocsparse_direction_T2_S2_llNS_24const_host_device_scalarIT6_EEPKT1_PKS2_PKT3_S2_PKT4_llS5_PT5_ll16rocsparse_order_21rocsparse_index_base_b.private_seg_size, 0
	.set _ZN9rocsparseL29bsrmm_general_blockdim_kernelILj32ELj32EiiaaffEEvb20rocsparse_direction_T2_S2_llNS_24const_host_device_scalarIT6_EEPKT1_PKS2_PKT3_S2_PKT4_llS5_PT5_ll16rocsparse_order_21rocsparse_index_base_b.uses_vcc, 1
	.set _ZN9rocsparseL29bsrmm_general_blockdim_kernelILj32ELj32EiiaaffEEvb20rocsparse_direction_T2_S2_llNS_24const_host_device_scalarIT6_EEPKT1_PKS2_PKT3_S2_PKT4_llS5_PT5_ll16rocsparse_order_21rocsparse_index_base_b.uses_flat_scratch, 0
	.set _ZN9rocsparseL29bsrmm_general_blockdim_kernelILj32ELj32EiiaaffEEvb20rocsparse_direction_T2_S2_llNS_24const_host_device_scalarIT6_EEPKT1_PKS2_PKT3_S2_PKT4_llS5_PT5_ll16rocsparse_order_21rocsparse_index_base_b.has_dyn_sized_stack, 0
	.set _ZN9rocsparseL29bsrmm_general_blockdim_kernelILj32ELj32EiiaaffEEvb20rocsparse_direction_T2_S2_llNS_24const_host_device_scalarIT6_EEPKT1_PKS2_PKT3_S2_PKT4_llS5_PT5_ll16rocsparse_order_21rocsparse_index_base_b.has_recursion, 0
	.set _ZN9rocsparseL29bsrmm_general_blockdim_kernelILj32ELj32EiiaaffEEvb20rocsparse_direction_T2_S2_llNS_24const_host_device_scalarIT6_EEPKT1_PKS2_PKT3_S2_PKT4_llS5_PT5_ll16rocsparse_order_21rocsparse_index_base_b.has_indirect_call, 0
	.section	.AMDGPU.csdata,"",@progbits
; Kernel info:
; codeLenInByte = 1824
; TotalNumSgprs: 54
; NumVgprs: 44
; NumAgprs: 0
; TotalNumVgprs: 44
; ScratchSize: 0
; MemoryBound: 0
; FloatMode: 240
; IeeeMode: 1
; LDSByteSize: 8192 bytes/workgroup (compile time only)
; SGPRBlocks: 6
; VGPRBlocks: 5
; NumSGPRsForWavesPerEU: 54
; NumVGPRsForWavesPerEU: 44
; AccumOffset: 44
; Occupancy: 8
; WaveLimiterHint : 1
; COMPUTE_PGM_RSRC2:SCRATCH_EN: 0
; COMPUTE_PGM_RSRC2:USER_SGPR: 2
; COMPUTE_PGM_RSRC2:TRAP_HANDLER: 0
; COMPUTE_PGM_RSRC2:TGID_X_EN: 1
; COMPUTE_PGM_RSRC2:TGID_Y_EN: 1
; COMPUTE_PGM_RSRC2:TGID_Z_EN: 0
; COMPUTE_PGM_RSRC2:TIDIG_COMP_CNT: 1
; COMPUTE_PGM_RSRC3_GFX90A:ACCUM_OFFSET: 10
; COMPUTE_PGM_RSRC3_GFX90A:TG_SPLIT: 0
	.section	.text._ZN9rocsparseL29bsrmm_general_blockdim_kernelILj32ELj32EliaaffEEvb20rocsparse_direction_T2_S2_llNS_24const_host_device_scalarIT6_EEPKT1_PKS2_PKT3_S2_PKT4_llS5_PT5_ll16rocsparse_order_21rocsparse_index_base_b,"axG",@progbits,_ZN9rocsparseL29bsrmm_general_blockdim_kernelILj32ELj32EliaaffEEvb20rocsparse_direction_T2_S2_llNS_24const_host_device_scalarIT6_EEPKT1_PKS2_PKT3_S2_PKT4_llS5_PT5_ll16rocsparse_order_21rocsparse_index_base_b,comdat
	.globl	_ZN9rocsparseL29bsrmm_general_blockdim_kernelILj32ELj32EliaaffEEvb20rocsparse_direction_T2_S2_llNS_24const_host_device_scalarIT6_EEPKT1_PKS2_PKT3_S2_PKT4_llS5_PT5_ll16rocsparse_order_21rocsparse_index_base_b ; -- Begin function _ZN9rocsparseL29bsrmm_general_blockdim_kernelILj32ELj32EliaaffEEvb20rocsparse_direction_T2_S2_llNS_24const_host_device_scalarIT6_EEPKT1_PKS2_PKT3_S2_PKT4_llS5_PT5_ll16rocsparse_order_21rocsparse_index_base_b
	.p2align	8
	.type	_ZN9rocsparseL29bsrmm_general_blockdim_kernelILj32ELj32EliaaffEEvb20rocsparse_direction_T2_S2_llNS_24const_host_device_scalarIT6_EEPKT1_PKS2_PKT3_S2_PKT4_llS5_PT5_ll16rocsparse_order_21rocsparse_index_base_b,@function
_ZN9rocsparseL29bsrmm_general_blockdim_kernelILj32ELj32EliaaffEEvb20rocsparse_direction_T2_S2_llNS_24const_host_device_scalarIT6_EEPKT1_PKS2_PKT3_S2_PKT4_llS5_PT5_ll16rocsparse_order_21rocsparse_index_base_b: ; @_ZN9rocsparseL29bsrmm_general_blockdim_kernelILj32ELj32EliaaffEEvb20rocsparse_direction_T2_S2_llNS_24const_host_device_scalarIT6_EEPKT1_PKS2_PKT3_S2_PKT4_llS5_PT5_ll16rocsparse_order_21rocsparse_index_base_b
; %bb.0:
	s_load_dwordx4 s[8:11], s[0:1], 0x80
	s_mov_b32 s4, s3
	s_waitcnt lgkmcnt(0)
	s_bitcmp1_b32 s10, 0
	s_load_dwordx2 s[6:7], s[0:1], 0x20
	s_load_dwordx2 s[10:11], s[0:1], 0x60
	s_cselect_b64 s[14:15], -1, 0
	s_xor_b64 s[12:13], s[14:15], -1
	s_and_b64 vcc, exec, s[14:15]
	s_cbranch_vccnz .LBB19_2
; %bb.1:
	s_waitcnt lgkmcnt(0)
	s_load_dword s6, s[6:7], 0x0
.LBB19_2:
	s_andn2_b64 vcc, exec, s[12:13]
	s_cbranch_vccnz .LBB19_4
; %bb.3:
	s_waitcnt lgkmcnt(0)
	s_load_dword s10, s[10:11], 0x0
.LBB19_4:
	s_waitcnt lgkmcnt(0)
	v_cmp_eq_f32_e64 s[12:13], s6, 0
	v_cmp_eq_f32_e64 s[14:15], s10, 1.0
	s_and_b64 s[12:13], s[12:13], s[14:15]
	s_and_b64 vcc, exec, s[12:13]
	s_cbranch_vccnz .LBB19_51
; %bb.5:
	s_load_dwordx4 s[24:27], s[0:1], 0x0
	s_load_dwordx2 s[12:13], s[0:1], 0x28
	s_mov_b64 s[36:37], 0
	s_mov_b64 s[28:29], 0
	s_waitcnt lgkmcnt(0)
	s_cmp_lt_i32 s2, s26
	s_cselect_b64 s[34:35], -1, 0
	s_cmp_ge_i32 s2, s26
	s_cbranch_scc0 .LBB19_8
; %bb.6:
	s_andn2_b64 vcc, exec, s[34:35]
	s_cbranch_vccz .LBB19_9
.LBB19_7:
	s_load_dword s7, s[0:1], 0x40
	s_waitcnt lgkmcnt(0)
	s_cmp_lt_i32 s7, 1
	s_cbranch_scc0 .LBB19_10
	s_branch .LBB19_51
.LBB19_8:
	s_ashr_i32 s3, s2, 31
	s_lshl_b64 s[14:15], s[2:3], 3
	s_add_u32 s14, s12, s14
	s_addc_u32 s15, s13, s15
	s_load_dwordx2 s[14:15], s[14:15], 0x0
	s_waitcnt lgkmcnt(0)
	s_sub_u32 s28, s14, s9
	s_subb_u32 s29, s15, 0
	s_andn2_b64 vcc, exec, s[34:35]
	s_cbranch_vccnz .LBB19_7
.LBB19_9:
	s_ashr_i32 s3, s2, 31
	s_lshl_b64 s[14:15], s[2:3], 3
	s_add_u32 s12, s12, s14
	s_addc_u32 s13, s13, s15
	s_load_dwordx2 s[12:13], s[12:13], 0x8
	s_waitcnt lgkmcnt(0)
	s_sub_u32 s36, s12, s9
	s_subb_u32 s37, s13, 0
	s_load_dword s7, s[0:1], 0x40
	s_waitcnt lgkmcnt(0)
	s_cmp_lt_i32 s7, 1
	s_cbranch_scc1 .LBB19_51
.LBB19_10:
	s_load_dwordx4 s[12:15], s[0:1], 0x68
	s_load_dwordx4 s[16:19], s[0:1], 0x30
	;; [unrolled: 1-line block ×3, first 2 shown]
	v_bfe_u32 v15, v0, 10, 10
	s_bitcmp1_b32 s24, 0
	s_cselect_b64 s[0:1], -1, 0
	v_lshl_add_u32 v8, s4, 5, v15
	s_xor_b64 s[30:31], s[0:1], -1
	v_ashrrev_i32_e32 v9, 31, v8
	s_waitcnt lgkmcnt(0)
	v_mov_b64_e32 v[4:5], s[20:21]
	v_and_b32_e32 v14, 0x3ff, v0
	s_mul_i32 s11, s7, s2
	v_mov_b64_e32 v[0:1], s[36:37]
	v_cmp_gt_i32_e64 s[0:1], s27, v8
	v_mul_lo_u32 v6, s22, v9
	v_mul_lo_u32 v7, s23, v8
	v_mad_u64_u32 v[4:5], s[2:3], s22, v8, v[4:5]
	s_cmp_lg_u32 s25, 0
	v_lshlrev_b32_e32 v16, 2, v14
	v_lshl_add_u64 v[2:3], s[20:21], 0, v[8:9]
	v_add3_u32 v5, v7, v5, v6
	s_cselect_b64 s[20:21], -1, 0
	s_and_b64 s[24:25], s[34:35], s[0:1]
	v_lshl_add_u64 v[6:7], v[8:9], 2, s[12:13]
	v_mul_lo_u32 v11, s14, v9
	v_mul_lo_u32 v12, s15, v8
	v_mad_u64_u32 v[8:9], s[2:3], s14, v8, 0
	v_cmp_lt_i64_e32 vcc, s[28:29], v[0:1]
	v_or_b32_e32 v10, 0x1000, v16
	v_lshlrev_b32_e32 v17, 7, v15
	s_cmp_lg_u32 s8, 1
	v_add3_u32 v9, v9, v11, v12
	v_cndmask_b32_e64 v11, 0, 1, vcc
	s_mov_b32 s33, 0
	s_mul_i32 s46, s7, s7
	v_cmp_neq_f32_e64 s[26:27], s10, 0
	s_cselect_b64 s[34:35], -1, 0
	v_lshl_add_u64 v[8:9], v[8:9], 2, s[12:13]
	v_cmp_ne_u32_e64 s[2:3], 1, v11
	v_add_u32_e32 v18, v10, v17
	v_add_u32_e32 v19, v16, v17
	;; [unrolled: 1-line block ×5, first 2 shown]
	s_branch .LBB19_12
.LBB19_11:                              ;   in Loop: Header=BB19_12 Depth=1
	s_or_b64 exec, exec, s[4:5]
	s_add_i32 s33, s33, 32
	s_cmp_lt_i32 s33, s7
	s_cbranch_scc0 .LBB19_51
.LBB19_12:                              ; =>This Loop Header: Depth=1
                                        ;     Child Loop BB19_15 Depth 2
                                        ;       Child Loop BB19_17 Depth 3
	v_add_u32_e32 v24, s33, v14
	v_mov_b32_e32 v23, 0
	s_and_b64 vcc, exec, s[2:3]
	v_cmp_gt_i32_e64 s[4:5], s7, v24
	s_cbranch_vccnz .LBB19_39
; %bb.13:                               ;   in Loop: Header=BB19_12 Depth=1
	v_mul_lo_u32 v25, v24, s7
	v_mov_b32_e32 v23, 0
	s_mov_b64 s[12:13], s[28:29]
	s_branch .LBB19_15
.LBB19_14:                              ;   in Loop: Header=BB19_15 Depth=2
	s_add_u32 s12, s12, 1
	s_addc_u32 s13, s13, 0
	v_cmp_ge_i64_e32 vcc, s[12:13], v[0:1]
	s_cbranch_vccnz .LBB19_39
.LBB19_15:                              ;   Parent Loop BB19_12 Depth=1
                                        ; =>  This Loop Header: Depth=2
                                        ;       Child Loop BB19_17 Depth 3
	s_lshl_b64 s[36:37], s[12:13], 2
	s_add_u32 s36, s16, s36
	s_addc_u32 s37, s17, s37
	s_load_dword s8, s[36:37], 0x0
	s_mul_i32 s36, s13, s46
	s_mul_hi_u32 s37, s12, s46
	s_mul_i32 s38, s12, s46
	s_add_i32 s37, s37, s36
	s_waitcnt lgkmcnt(0)
	s_sub_i32 s8, s8, s9
	s_mul_i32 s8, s8, s7
	s_add_u32 s36, s18, s38
	s_addc_u32 s37, s19, s37
	v_add_u32_e32 v26, s8, v14
	s_mov_b32 s8, 0
	s_branch .LBB19_17
.LBB19_16:                              ;   in Loop: Header=BB19_17 Depth=3
	s_or_b64 exec, exec, s[38:39]
	ds_write_b32 v19, v11
	s_waitcnt lgkmcnt(0)
	s_barrier
	ds_read2_b32 v[40:41], v16 offset1:32
	ds_read_b128 v[10:13], v17 offset:4096
	ds_read_b128 v[28:31], v17 offset:4112
	ds_read2_b32 v[42:43], v16 offset0:64 offset1:96
	ds_read_b128 v[32:35], v17 offset:4128
	ds_read_b128 v[36:39], v17 offset:4144
	ds_read2_b32 v[44:45], v16 offset0:128 offset1:160
	s_waitcnt lgkmcnt(5)
	v_fmac_f32_e32 v23, v40, v10
	v_fmac_f32_e32 v23, v41, v11
	ds_read2_b32 v[10:11], v16 offset0:192 offset1:224
	s_waitcnt lgkmcnt(4)
	v_fmac_f32_e32 v23, v42, v12
	v_fmac_f32_e32 v23, v43, v13
	ds_read2_b32 v[12:13], v20 offset1:32
	s_waitcnt lgkmcnt(2)
	v_fmac_f32_e32 v23, v44, v28
	v_fmac_f32_e32 v23, v45, v29
	ds_read2_b32 v[28:29], v20 offset0:64 offset1:96
	s_waitcnt lgkmcnt(2)
	v_fmac_f32_e32 v23, v10, v30
	v_fmac_f32_e32 v23, v11, v31
	s_waitcnt lgkmcnt(1)
	v_fmac_f32_e32 v23, v12, v32
	ds_read2_b32 v[10:11], v20 offset0:128 offset1:160
	v_fmac_f32_e32 v23, v13, v33
	s_waitcnt lgkmcnt(1)
	v_fmac_f32_e32 v23, v28, v34
	v_fmac_f32_e32 v23, v29, v35
	ds_read2_b32 v[28:29], v20 offset0:192 offset1:224
	s_waitcnt lgkmcnt(1)
	v_fmac_f32_e32 v23, v10, v36
	v_fmac_f32_e32 v23, v11, v37
	ds_read2_b32 v[32:33], v21 offset1:32
	ds_read_b128 v[10:13], v17 offset:4160
	s_add_i32 s8, s8, 32
	s_waitcnt lgkmcnt(2)
	v_fmac_f32_e32 v23, v28, v38
	v_fmac_f32_e32 v23, v29, v39
	ds_read2_b32 v[34:35], v21 offset0:64 offset1:96
	ds_read_b128 v[28:31], v17 offset:4176
	ds_read2_b32 v[36:37], v21 offset0:128 offset1:160
	s_waitcnt lgkmcnt(3)
	v_fmac_f32_e32 v23, v32, v10
	v_fmac_f32_e32 v23, v33, v11
	ds_read2_b32 v[32:33], v21 offset0:192 offset1:224
	s_waitcnt lgkmcnt(3)
	v_fmac_f32_e32 v23, v34, v12
	v_fmac_f32_e32 v23, v35, v13
	s_waitcnt lgkmcnt(1)
	v_fmac_f32_e32 v23, v36, v28
	ds_read2_b32 v[34:35], v22 offset1:32
	ds_read_b128 v[10:13], v17 offset:4192
	v_fmac_f32_e32 v23, v37, v29
	s_waitcnt lgkmcnt(2)
	v_fmac_f32_e32 v23, v32, v30
	v_fmac_f32_e32 v23, v33, v31
	ds_read2_b32 v[32:33], v22 offset0:64 offset1:96
	ds_read_b128 v[28:31], v17 offset:4208
	ds_read2_b32 v[36:37], v22 offset0:128 offset1:160
	s_waitcnt lgkmcnt(3)
	v_fmac_f32_e32 v23, v34, v10
	v_fmac_f32_e32 v23, v35, v11
	ds_read2_b32 v[10:11], v22 offset0:192 offset1:224
	s_waitcnt lgkmcnt(3)
	v_fmac_f32_e32 v23, v32, v12
	v_fmac_f32_e32 v23, v33, v13
	s_waitcnt lgkmcnt(1)
	v_fmac_f32_e32 v23, v36, v28
	v_fmac_f32_e32 v23, v37, v29
	s_waitcnt lgkmcnt(0)
	v_fmac_f32_e32 v23, v10, v30
	v_fmac_f32_e32 v23, v11, v31
	s_cmp_ge_i32 s8, s7
	s_barrier
	s_cbranch_scc1 .LBB19_14
.LBB19_17:                              ;   Parent Loop BB19_12 Depth=1
                                        ;     Parent Loop BB19_15 Depth=2
                                        ; =>    This Inner Loop Header: Depth=3
	s_mov_b64 s[38:39], -1
	s_and_b64 vcc, exec, s[30:31]
                                        ; implicit-def: $vgpr10
	s_cbranch_vccnz .LBB19_26
; %bb.18:                               ;   in Loop: Header=BB19_17 Depth=3
	s_andn2_b64 vcc, exec, s[38:39]
	s_cbranch_vccz .LBB19_31
.LBB19_19:                              ;   in Loop: Header=BB19_17 Depth=3
	s_and_b64 vcc, exec, s[20:21]
	ds_write_b32 v18, v10
	s_cbranch_vccz .LBB19_36
.LBB19_20:                              ;   in Loop: Header=BB19_17 Depth=3
	s_mov_b64 s[38:39], 0
	s_mov_b64 s[40:41], 0
                                        ; implicit-def: $vgpr10
	s_and_saveexec_b64 s[42:43], s[4:5]
	s_cbranch_execz .LBB19_24
; %bb.21:                               ;   in Loop: Header=BB19_17 Depth=3
	v_add_u32_e32 v11, s8, v15
	v_cmp_gt_i32_e32 vcc, s7, v11
                                        ; implicit-def: $vgpr10
	s_and_saveexec_b64 s[44:45], vcc
	s_xor_b64 s[44:45], exec, s[44:45]
; %bb.22:                               ;   in Loop: Header=BB19_17 Depth=3
	s_mov_b64 s[40:41], exec
	v_mul_lo_u32 v10, v11, s7
; %bb.23:                               ;   in Loop: Header=BB19_17 Depth=3
	s_or_b64 exec, exec, s[44:45]
	s_and_b64 s[40:41], s[40:41], exec
.LBB19_24:                              ;   in Loop: Header=BB19_17 Depth=3
	s_or_b64 exec, exec, s[42:43]
	s_and_b64 vcc, exec, s[38:39]
	s_cbranch_vccz .LBB19_37
.LBB19_25:                              ;   in Loop: Header=BB19_17 Depth=3
	v_add_u32_e32 v10, s8, v15
	v_cmp_gt_i32_e32 vcc, s7, v10
	s_and_b64 s[38:39], s[4:5], vcc
	s_andn2_b64 s[40:41], s[40:41], exec
	s_and_b64 s[38:39], s[38:39], exec
	s_or_b64 s[40:41], s[40:41], s[38:39]
	v_mov_b32_e32 v12, v25
	v_mov_b32_e32 v11, 0
	s_and_saveexec_b64 s[38:39], s[40:41]
	s_cbranch_execz .LBB19_16
	s_branch .LBB19_38
.LBB19_26:                              ;   in Loop: Header=BB19_17 Depth=3
	v_mov_b32_e32 v10, 0
	s_and_saveexec_b64 s[38:39], s[0:1]
	s_cbranch_execz .LBB19_30
; %bb.27:                               ;   in Loop: Header=BB19_17 Depth=3
	v_add_u32_e32 v10, s8, v14
	v_cmp_gt_i32_e32 vcc, s7, v10
	v_mov_b32_e32 v10, 0
	s_and_saveexec_b64 s[40:41], vcc
	s_cbranch_execz .LBB19_29
; %bb.28:                               ;   in Loop: Header=BB19_17 Depth=3
	v_add_u32_e32 v10, s8, v26
	v_ashrrev_i32_e32 v11, 31, v10
	v_mul_lo_u32 v12, s22, v11
	v_mul_lo_u32 v13, s23, v10
	v_mad_u64_u32 v[10:11], s[42:43], s22, v10, v[2:3]
	v_add3_u32 v11, v13, v11, v12
	global_load_sbyte v10, v[10:11], off
	s_waitcnt vmcnt(0)
	v_cvt_f32_i32_e32 v10, v10
.LBB19_29:                              ;   in Loop: Header=BB19_17 Depth=3
	s_or_b64 exec, exec, s[40:41]
.LBB19_30:                              ;   in Loop: Header=BB19_17 Depth=3
	s_or_b64 exec, exec, s[38:39]
	s_cbranch_execnz .LBB19_19
.LBB19_31:                              ;   in Loop: Header=BB19_17 Depth=3
	v_mov_b32_e32 v10, 0
	s_and_saveexec_b64 s[38:39], s[0:1]
	s_cbranch_execz .LBB19_35
; %bb.32:                               ;   in Loop: Header=BB19_17 Depth=3
	v_add_u32_e32 v10, s8, v14
	v_cmp_gt_i32_e32 vcc, s7, v10
	v_mov_b32_e32 v10, 0
	s_and_saveexec_b64 s[40:41], vcc
	s_cbranch_execz .LBB19_34
; %bb.33:                               ;   in Loop: Header=BB19_17 Depth=3
	v_add_u32_e32 v10, s8, v26
	v_ashrrev_i32_e32 v11, 31, v10
	v_lshl_add_u64 v[10:11], v[4:5], 0, v[10:11]
	global_load_sbyte v10, v[10:11], off
	s_waitcnt vmcnt(0)
	v_cvt_f32_i32_e32 v10, v10
.LBB19_34:                              ;   in Loop: Header=BB19_17 Depth=3
	s_or_b64 exec, exec, s[40:41]
.LBB19_35:                              ;   in Loop: Header=BB19_17 Depth=3
	s_or_b64 exec, exec, s[38:39]
	s_and_b64 vcc, exec, s[20:21]
	ds_write_b32 v18, v10
	s_cbranch_vccnz .LBB19_20
.LBB19_36:                              ;   in Loop: Header=BB19_17 Depth=3
	s_mov_b64 s[40:41], 0
                                        ; implicit-def: $vgpr10
	s_cbranch_execnz .LBB19_25
.LBB19_37:                              ;   in Loop: Header=BB19_17 Depth=3
	v_mov_b32_e32 v12, v24
	v_mov_b32_e32 v11, 0
	s_and_saveexec_b64 s[38:39], s[40:41]
	s_cbranch_execz .LBB19_16
.LBB19_38:                              ;   in Loop: Header=BB19_17 Depth=3
	v_ashrrev_i32_e32 v13, 31, v12
	v_lshl_add_u64 v[12:13], s[36:37], 0, v[12:13]
	v_ashrrev_i32_e32 v11, 31, v10
	v_lshl_add_u64 v[10:11], v[12:13], 0, v[10:11]
	global_load_sbyte v10, v[10:11], off
	s_waitcnt vmcnt(0)
	v_cvt_f32_i32_e32 v11, v10
	s_branch .LBB19_16
.LBB19_39:                              ;   in Loop: Header=BB19_12 Depth=1
	v_cmp_gt_i32_e32 vcc, s7, v24
	s_and_b64 s[12:13], s[24:25], vcc
	s_and_saveexec_b64 s[4:5], s[12:13]
	s_cbranch_execz .LBB19_11
; %bb.40:                               ;   in Loop: Header=BB19_12 Depth=1
	v_add_u32_e32 v10, s11, v24
	s_and_b64 vcc, exec, s[26:27]
	v_ashrrev_i32_e32 v11, 31, v10
	s_mov_b64 s[12:13], -1
	s_cbranch_vccz .LBB19_46
; %bb.41:                               ;   in Loop: Header=BB19_12 Depth=1
	s_and_b64 vcc, exec, s[34:35]
	s_cbranch_vccz .LBB19_43
; %bb.42:                               ;   in Loop: Header=BB19_12 Depth=1
	v_mul_lo_u32 v24, s15, v10
	v_mul_lo_u32 v25, s14, v11
	v_mad_u64_u32 v[12:13], s[12:13], s14, v10, 0
	v_add3_u32 v13, v13, v25, v24
	v_lshl_add_u64 v[12:13], v[12:13], 2, v[6:7]
	global_load_dword v24, v[12:13], off
	v_mul_f32_e32 v25, s6, v23
	s_mov_b64 s[12:13], 0
	s_waitcnt vmcnt(0)
	v_fmac_f32_e32 v25, s10, v24
	global_store_dword v[12:13], v25, off
.LBB19_43:                              ;   in Loop: Header=BB19_12 Depth=1
	s_andn2_b64 vcc, exec, s[12:13]
	s_cbranch_vccnz .LBB19_45
; %bb.44:                               ;   in Loop: Header=BB19_12 Depth=1
	v_lshl_add_u64 v[12:13], v[10:11], 2, v[8:9]
	global_load_dword v24, v[12:13], off
	v_mul_f32_e32 v25, s6, v23
	s_waitcnt vmcnt(0)
	v_fmac_f32_e32 v25, s10, v24
	global_store_dword v[12:13], v25, off
.LBB19_45:                              ;   in Loop: Header=BB19_12 Depth=1
	s_mov_b64 s[12:13], 0
.LBB19_46:                              ;   in Loop: Header=BB19_12 Depth=1
	s_andn2_b64 vcc, exec, s[12:13]
	s_cbranch_vccnz .LBB19_11
; %bb.47:                               ;   in Loop: Header=BB19_12 Depth=1
	v_mul_f32_e32 v12, s6, v23
	s_mov_b64 s[12:13], -1
	s_and_b64 vcc, exec, s[34:35]
	s_cbranch_vccz .LBB19_49
; %bb.48:                               ;   in Loop: Header=BB19_12 Depth=1
	v_mul_lo_u32 v13, s15, v10
	v_mul_lo_u32 v23, s14, v11
	v_mad_u64_u32 v[24:25], s[12:13], s14, v10, 0
	v_add3_u32 v25, v25, v23, v13
	v_lshl_add_u64 v[24:25], v[24:25], 2, v[6:7]
	global_store_dword v[24:25], v12, off
	s_mov_b64 s[12:13], 0
.LBB19_49:                              ;   in Loop: Header=BB19_12 Depth=1
	s_andn2_b64 vcc, exec, s[12:13]
	s_cbranch_vccnz .LBB19_11
; %bb.50:                               ;   in Loop: Header=BB19_12 Depth=1
	v_lshl_add_u64 v[10:11], v[10:11], 2, v[8:9]
	global_store_dword v[10:11], v12, off
	s_branch .LBB19_11
.LBB19_51:
	s_endpgm
	.section	.rodata,"a",@progbits
	.p2align	6, 0x0
	.amdhsa_kernel _ZN9rocsparseL29bsrmm_general_blockdim_kernelILj32ELj32EliaaffEEvb20rocsparse_direction_T2_S2_llNS_24const_host_device_scalarIT6_EEPKT1_PKS2_PKT3_S2_PKT4_llS5_PT5_ll16rocsparse_order_21rocsparse_index_base_b
		.amdhsa_group_segment_fixed_size 8192
		.amdhsa_private_segment_fixed_size 0
		.amdhsa_kernarg_size 140
		.amdhsa_user_sgpr_count 2
		.amdhsa_user_sgpr_dispatch_ptr 0
		.amdhsa_user_sgpr_queue_ptr 0
		.amdhsa_user_sgpr_kernarg_segment_ptr 1
		.amdhsa_user_sgpr_dispatch_id 0
		.amdhsa_user_sgpr_kernarg_preload_length 0
		.amdhsa_user_sgpr_kernarg_preload_offset 0
		.amdhsa_user_sgpr_private_segment_size 0
		.amdhsa_uses_dynamic_stack 0
		.amdhsa_enable_private_segment 0
		.amdhsa_system_sgpr_workgroup_id_x 1
		.amdhsa_system_sgpr_workgroup_id_y 1
		.amdhsa_system_sgpr_workgroup_id_z 0
		.amdhsa_system_sgpr_workgroup_info 0
		.amdhsa_system_vgpr_workitem_id 1
		.amdhsa_next_free_vgpr 46
		.amdhsa_next_free_sgpr 47
		.amdhsa_accum_offset 48
		.amdhsa_reserve_vcc 1
		.amdhsa_float_round_mode_32 0
		.amdhsa_float_round_mode_16_64 0
		.amdhsa_float_denorm_mode_32 3
		.amdhsa_float_denorm_mode_16_64 3
		.amdhsa_dx10_clamp 1
		.amdhsa_ieee_mode 1
		.amdhsa_fp16_overflow 0
		.amdhsa_tg_split 0
		.amdhsa_exception_fp_ieee_invalid_op 0
		.amdhsa_exception_fp_denorm_src 0
		.amdhsa_exception_fp_ieee_div_zero 0
		.amdhsa_exception_fp_ieee_overflow 0
		.amdhsa_exception_fp_ieee_underflow 0
		.amdhsa_exception_fp_ieee_inexact 0
		.amdhsa_exception_int_div_zero 0
	.end_amdhsa_kernel
	.section	.text._ZN9rocsparseL29bsrmm_general_blockdim_kernelILj32ELj32EliaaffEEvb20rocsparse_direction_T2_S2_llNS_24const_host_device_scalarIT6_EEPKT1_PKS2_PKT3_S2_PKT4_llS5_PT5_ll16rocsparse_order_21rocsparse_index_base_b,"axG",@progbits,_ZN9rocsparseL29bsrmm_general_blockdim_kernelILj32ELj32EliaaffEEvb20rocsparse_direction_T2_S2_llNS_24const_host_device_scalarIT6_EEPKT1_PKS2_PKT3_S2_PKT4_llS5_PT5_ll16rocsparse_order_21rocsparse_index_base_b,comdat
.Lfunc_end19:
	.size	_ZN9rocsparseL29bsrmm_general_blockdim_kernelILj32ELj32EliaaffEEvb20rocsparse_direction_T2_S2_llNS_24const_host_device_scalarIT6_EEPKT1_PKS2_PKT3_S2_PKT4_llS5_PT5_ll16rocsparse_order_21rocsparse_index_base_b, .Lfunc_end19-_ZN9rocsparseL29bsrmm_general_blockdim_kernelILj32ELj32EliaaffEEvb20rocsparse_direction_T2_S2_llNS_24const_host_device_scalarIT6_EEPKT1_PKS2_PKT3_S2_PKT4_llS5_PT5_ll16rocsparse_order_21rocsparse_index_base_b
                                        ; -- End function
	.set _ZN9rocsparseL29bsrmm_general_blockdim_kernelILj32ELj32EliaaffEEvb20rocsparse_direction_T2_S2_llNS_24const_host_device_scalarIT6_EEPKT1_PKS2_PKT3_S2_PKT4_llS5_PT5_ll16rocsparse_order_21rocsparse_index_base_b.num_vgpr, 46
	.set _ZN9rocsparseL29bsrmm_general_blockdim_kernelILj32ELj32EliaaffEEvb20rocsparse_direction_T2_S2_llNS_24const_host_device_scalarIT6_EEPKT1_PKS2_PKT3_S2_PKT4_llS5_PT5_ll16rocsparse_order_21rocsparse_index_base_b.num_agpr, 0
	.set _ZN9rocsparseL29bsrmm_general_blockdim_kernelILj32ELj32EliaaffEEvb20rocsparse_direction_T2_S2_llNS_24const_host_device_scalarIT6_EEPKT1_PKS2_PKT3_S2_PKT4_llS5_PT5_ll16rocsparse_order_21rocsparse_index_base_b.numbered_sgpr, 47
	.set _ZN9rocsparseL29bsrmm_general_blockdim_kernelILj32ELj32EliaaffEEvb20rocsparse_direction_T2_S2_llNS_24const_host_device_scalarIT6_EEPKT1_PKS2_PKT3_S2_PKT4_llS5_PT5_ll16rocsparse_order_21rocsparse_index_base_b.num_named_barrier, 0
	.set _ZN9rocsparseL29bsrmm_general_blockdim_kernelILj32ELj32EliaaffEEvb20rocsparse_direction_T2_S2_llNS_24const_host_device_scalarIT6_EEPKT1_PKS2_PKT3_S2_PKT4_llS5_PT5_ll16rocsparse_order_21rocsparse_index_base_b.private_seg_size, 0
	.set _ZN9rocsparseL29bsrmm_general_blockdim_kernelILj32ELj32EliaaffEEvb20rocsparse_direction_T2_S2_llNS_24const_host_device_scalarIT6_EEPKT1_PKS2_PKT3_S2_PKT4_llS5_PT5_ll16rocsparse_order_21rocsparse_index_base_b.uses_vcc, 1
	.set _ZN9rocsparseL29bsrmm_general_blockdim_kernelILj32ELj32EliaaffEEvb20rocsparse_direction_T2_S2_llNS_24const_host_device_scalarIT6_EEPKT1_PKS2_PKT3_S2_PKT4_llS5_PT5_ll16rocsparse_order_21rocsparse_index_base_b.uses_flat_scratch, 0
	.set _ZN9rocsparseL29bsrmm_general_blockdim_kernelILj32ELj32EliaaffEEvb20rocsparse_direction_T2_S2_llNS_24const_host_device_scalarIT6_EEPKT1_PKS2_PKT3_S2_PKT4_llS5_PT5_ll16rocsparse_order_21rocsparse_index_base_b.has_dyn_sized_stack, 0
	.set _ZN9rocsparseL29bsrmm_general_blockdim_kernelILj32ELj32EliaaffEEvb20rocsparse_direction_T2_S2_llNS_24const_host_device_scalarIT6_EEPKT1_PKS2_PKT3_S2_PKT4_llS5_PT5_ll16rocsparse_order_21rocsparse_index_base_b.has_recursion, 0
	.set _ZN9rocsparseL29bsrmm_general_blockdim_kernelILj32ELj32EliaaffEEvb20rocsparse_direction_T2_S2_llNS_24const_host_device_scalarIT6_EEPKT1_PKS2_PKT3_S2_PKT4_llS5_PT5_ll16rocsparse_order_21rocsparse_index_base_b.has_indirect_call, 0
	.section	.AMDGPU.csdata,"",@progbits
; Kernel info:
; codeLenInByte = 1812
; TotalNumSgprs: 53
; NumVgprs: 46
; NumAgprs: 0
; TotalNumVgprs: 46
; ScratchSize: 0
; MemoryBound: 0
; FloatMode: 240
; IeeeMode: 1
; LDSByteSize: 8192 bytes/workgroup (compile time only)
; SGPRBlocks: 6
; VGPRBlocks: 5
; NumSGPRsForWavesPerEU: 53
; NumVGPRsForWavesPerEU: 46
; AccumOffset: 48
; Occupancy: 8
; WaveLimiterHint : 1
; COMPUTE_PGM_RSRC2:SCRATCH_EN: 0
; COMPUTE_PGM_RSRC2:USER_SGPR: 2
; COMPUTE_PGM_RSRC2:TRAP_HANDLER: 0
; COMPUTE_PGM_RSRC2:TGID_X_EN: 1
; COMPUTE_PGM_RSRC2:TGID_Y_EN: 1
; COMPUTE_PGM_RSRC2:TGID_Z_EN: 0
; COMPUTE_PGM_RSRC2:TIDIG_COMP_CNT: 1
; COMPUTE_PGM_RSRC3_GFX90A:ACCUM_OFFSET: 11
; COMPUTE_PGM_RSRC3_GFX90A:TG_SPLIT: 0
	.section	.text._ZN9rocsparseL29bsrmm_general_blockdim_kernelILj32ELj32EllaaffEEvb20rocsparse_direction_T2_S2_llNS_24const_host_device_scalarIT6_EEPKT1_PKS2_PKT3_S2_PKT4_llS5_PT5_ll16rocsparse_order_21rocsparse_index_base_b,"axG",@progbits,_ZN9rocsparseL29bsrmm_general_blockdim_kernelILj32ELj32EllaaffEEvb20rocsparse_direction_T2_S2_llNS_24const_host_device_scalarIT6_EEPKT1_PKS2_PKT3_S2_PKT4_llS5_PT5_ll16rocsparse_order_21rocsparse_index_base_b,comdat
	.globl	_ZN9rocsparseL29bsrmm_general_blockdim_kernelILj32ELj32EllaaffEEvb20rocsparse_direction_T2_S2_llNS_24const_host_device_scalarIT6_EEPKT1_PKS2_PKT3_S2_PKT4_llS5_PT5_ll16rocsparse_order_21rocsparse_index_base_b ; -- Begin function _ZN9rocsparseL29bsrmm_general_blockdim_kernelILj32ELj32EllaaffEEvb20rocsparse_direction_T2_S2_llNS_24const_host_device_scalarIT6_EEPKT1_PKS2_PKT3_S2_PKT4_llS5_PT5_ll16rocsparse_order_21rocsparse_index_base_b
	.p2align	8
	.type	_ZN9rocsparseL29bsrmm_general_blockdim_kernelILj32ELj32EllaaffEEvb20rocsparse_direction_T2_S2_llNS_24const_host_device_scalarIT6_EEPKT1_PKS2_PKT3_S2_PKT4_llS5_PT5_ll16rocsparse_order_21rocsparse_index_base_b,@function
_ZN9rocsparseL29bsrmm_general_blockdim_kernelILj32ELj32EllaaffEEvb20rocsparse_direction_T2_S2_llNS_24const_host_device_scalarIT6_EEPKT1_PKS2_PKT3_S2_PKT4_llS5_PT5_ll16rocsparse_order_21rocsparse_index_base_b: ; @_ZN9rocsparseL29bsrmm_general_blockdim_kernelILj32ELj32EllaaffEEvb20rocsparse_direction_T2_S2_llNS_24const_host_device_scalarIT6_EEPKT1_PKS2_PKT3_S2_PKT4_llS5_PT5_ll16rocsparse_order_21rocsparse_index_base_b
; %bb.0:
	s_load_dwordx4 s[20:23], s[0:1], 0x88
	s_mov_b32 s6, s3
	s_waitcnt lgkmcnt(0)
	s_bitcmp1_b32 s22, 0
	s_load_dwordx2 s[22:23], s[0:1], 0x28
	s_load_dwordx2 s[28:29], s[0:1], 0x68
	s_cselect_b64 s[8:9], -1, 0
	s_xor_b64 s[4:5], s[8:9], -1
	s_and_b64 vcc, exec, s[8:9]
	s_cbranch_vccnz .LBB20_2
; %bb.1:
	s_waitcnt lgkmcnt(0)
	s_load_dword s22, s[22:23], 0x0
.LBB20_2:
	s_andn2_b64 vcc, exec, s[4:5]
	s_cbranch_vccnz .LBB20_4
; %bb.3:
	s_waitcnt lgkmcnt(0)
	s_load_dword s28, s[28:29], 0x0
.LBB20_4:
	s_waitcnt lgkmcnt(0)
	v_cmp_eq_f32_e64 s[4:5], s22, 0
	v_cmp_eq_f32_e64 s[8:9], s28, 1.0
	s_and_b64 s[4:5], s[4:5], s[8:9]
	s_and_b64 vcc, exec, s[4:5]
	s_cbranch_vccnz .LBB20_53
; %bb.5:
	s_load_dwordx4 s[24:27], s[0:1], 0x8
	s_load_dwordx2 s[8:9], s[0:1], 0x30
	s_ashr_i32 s3, s2, 31
	v_mov_b64_e32 v[2:3], s[2:3]
	s_mov_b64 s[30:31], 0
	s_waitcnt lgkmcnt(0)
	v_cmp_le_i64_e32 vcc, s[24:25], v[2:3]
	v_cmp_gt_i64_e64 s[4:5], s[24:25], v[2:3]
	s_mov_b64 s[24:25], 0
	s_cbranch_vccz .LBB20_8
; %bb.6:
	s_andn2_b64 vcc, exec, s[4:5]
	s_cbranch_vccz .LBB20_9
.LBB20_7:
	s_load_dwordx2 s[34:35], s[0:1], 0x48
	s_waitcnt lgkmcnt(0)
	v_cmp_lt_i64_e64 s[8:9], s[34:35], 1
	s_and_b64 vcc, exec, s[8:9]
	s_cbranch_vccz .LBB20_10
	s_branch .LBB20_53
.LBB20_8:
	s_lshl_b64 s[10:11], s[2:3], 3
	s_add_u32 s10, s8, s10
	s_addc_u32 s11, s9, s11
	s_load_dwordx2 s[10:11], s[10:11], 0x0
	s_waitcnt lgkmcnt(0)
	s_sub_u32 s30, s10, s21
	s_subb_u32 s31, s11, 0
	s_andn2_b64 vcc, exec, s[4:5]
	s_cbranch_vccnz .LBB20_7
.LBB20_9:
	s_lshl_b64 s[10:11], s[2:3], 3
	s_add_u32 s8, s8, s10
	s_addc_u32 s9, s9, s11
	s_load_dwordx2 s[8:9], s[8:9], 0x8
	s_waitcnt lgkmcnt(0)
	s_sub_u32 s24, s8, s21
	s_subb_u32 s25, s9, 0
	s_load_dwordx2 s[34:35], s[0:1], 0x48
	s_waitcnt lgkmcnt(0)
	v_cmp_lt_i64_e64 s[8:9], s[34:35], 1
	s_and_b64 vcc, exec, s[8:9]
	s_cbranch_vccnz .LBB20_53
.LBB20_10:
	s_load_dwordx4 s[8:11], s[0:1], 0x70
	s_load_dwordx4 s[12:15], s[0:1], 0x50
	;; [unrolled: 1-line block ×3, first 2 shown]
	s_load_dwordx2 s[38:39], s[0:1], 0x0
	v_bfe_u32 v2, v0, 10, 10
	v_lshl_add_u32 v10, s6, 5, v2
	s_waitcnt lgkmcnt(0)
	v_mov_b64_e32 v[6:7], s[12:13]
	s_mul_i32 s36, s34, s2
	s_bitcmp1_b32 s38, 0
	s_cselect_b64 s[0:1], -1, 0
	s_xor_b64 s[6:7], s[0:1], -1
	s_mul_i32 s0, s35, s2
	s_mul_hi_u32 s1, s34, s2
	v_mad_u64_u32 v[6:7], s[2:3], s14, v10, v[6:7]
	v_mov_b32_e32 v8, v7
	v_mad_u64_u32 v[8:9], s[2:3], s15, v10, v[8:9]
	v_mov_b32_e32 v7, v8
	;; [unrolled: 2-line block ×3, first 2 shown]
	s_add_i32 s37, s1, s0
	v_mov_b32_e32 v12, v9
	v_and_b32_e32 v0, 0x3ff, v0
	v_mov_b32_e32 v1, v11
	v_cmp_gt_i64_e64 s[0:1], s[26:27], v[10:11]
	s_cmp_lg_u32 s39, 0
	v_mad_u64_u32 v[12:13], s[2:3], s11, v10, v[12:13]
	v_mov_b32_e32 v32, s34
	s_cselect_b64 s[26:27], -1, 0
	s_and_b64 s[38:39], s[4:5], s[0:1]
	v_mov_b32_e32 v9, v12
	v_mad_u64_u32 v[12:13], s[2:3], s30, v32, v[0:1]
	s_cmp_lg_u32 s20, 1
	s_mul_i32 s2, s31, s34
	s_mul_i32 s3, s30, s35
	s_mov_b32 s23, s21
	v_mov_b32_e32 v3, v11
	s_cselect_b64 s[20:21], -1, 0
	s_add_i32 s4, s3, s2
	v_add_u32_e32 v13, s4, v13
	v_mad_u64_u32 v[14:15], s[2:3], s34, v12, v[2:3]
	v_mul_lo_u32 v13, s34, v13
	v_mul_lo_u32 v12, s35, v12
	s_mul_i32 s2, s34, s35
	s_mul_hi_u32 s3, s34, s34
	v_add3_u32 v15, v12, v15, v13
	s_add_i32 s3, s3, s2
	v_lshl_add_u64 v[12:13], s[18:19], 0, v[14:15]
	s_add_i32 s43, s3, s2
	v_mad_u64_u32 v[14:15], s[2:3], s30, v32, v[2:3]
	v_mov_b64_e32 v[16:17], s[24:25]
	v_add_u32_e32 v15, s4, v15
	v_lshlrev_b32_e32 v30, 2, v0
	v_mul_lo_u32 v15, s34, v15
	v_mad_u64_u32 v[18:19], s[2:3], s34, v14, v[0:1]
	v_mul_lo_u32 v14, s35, v14
	v_cmp_lt_i64_e32 vcc, s[30:31], v[16:17]
	v_or_b32_e32 v20, 0x1000, v30
	v_lshlrev_b32_e32 v31, 7, v2
	v_add3_u32 v19, v14, v19, v15
	v_cndmask_b32_e64 v16, 0, 1, vcc
	v_lshl_add_u64 v[4:5], v[10:11], 2, s[8:9]
	v_cmp_neq_f32_e64 s[40:41], s28, 0
	v_lshl_add_u64 v[8:9], v[8:9], 2, s[8:9]
	v_lshl_add_u64 v[10:11], s[12:13], 0, v[10:11]
	s_lshl_b64 s[8:9], s[14:15], 5
	s_lshl_b64 s[12:13], s[34:35], 5
	s_mul_i32 s42, s34, s34
	v_lshl_add_u64 v[14:15], s[18:19], 0, v[18:19]
	s_mov_b64 s[18:19], 0
	v_cmp_ne_u32_e64 s[2:3], 1, v16
	v_add_u32_e32 v33, v20, v31
	v_add_u32_e32 v34, v30, v31
	;; [unrolled: 1-line block ×3, first 2 shown]
	s_branch .LBB20_12
.LBB20_11:                              ;   in Loop: Header=BB20_12 Depth=1
	s_or_b64 exec, exec, s[4:5]
	s_add_u32 s18, s18, 32
	s_addc_u32 s19, s19, 0
	v_mov_b64_e32 v[16:17], s[34:35]
	v_cmp_lt_i64_e32 vcc, s[18:19], v[16:17]
	v_lshl_add_u64 v[12:13], v[12:13], 0, s[12:13]
	v_lshl_add_u64 v[14:15], v[14:15], 0, 32
	s_cbranch_vccz .LBB20_53
.LBB20_12:                              ; =>This Loop Header: Depth=1
                                        ;     Child Loop BB20_15 Depth 2
                                        ;       Child Loop BB20_19 Depth 3
	v_lshl_add_u64 v[16:17], s[18:19], 0, v[0:1]
	s_and_b64 vcc, exec, s[2:3]
	v_cmp_gt_i64_e64 s[4:5], s[34:35], v[16:17]
	v_mov_b32_e32 v36, 0
	s_cbranch_vccnz .LBB20_41
; %bb.13:                               ;   in Loop: Header=BB20_12 Depth=1
	v_mov_b32_e32 v36, 0
	v_mov_b64_e32 v[18:19], v[14:15]
	v_mov_b64_e32 v[20:21], v[12:13]
	s_mov_b64 s[44:45], s[30:31]
	s_branch .LBB20_15
.LBB20_14:                              ;   in Loop: Header=BB20_15 Depth=2
	s_add_u32 s44, s44, 1
	s_addc_u32 s45, s45, 0
	v_mov_b64_e32 v[22:23], s[24:25]
	v_cmp_ge_i64_e32 vcc, s[44:45], v[22:23]
	v_lshl_add_u64 v[20:21], v[20:21], 0, s[42:43]
	v_lshl_add_u64 v[18:19], v[18:19], 0, s[42:43]
	s_cbranch_vccnz .LBB20_41
.LBB20_15:                              ;   Parent Loop BB20_12 Depth=1
                                        ; =>  This Loop Header: Depth=2
                                        ;       Child Loop BB20_19 Depth 3
	s_lshl_b64 s[46:47], s[44:45], 3
	s_add_u32 s46, s16, s46
	s_addc_u32 s47, s17, s47
	s_load_dwordx2 s[46:47], s[46:47], 0x0
	v_mov_b64_e32 v[28:29], v[0:1]
	s_waitcnt lgkmcnt(0)
	s_sub_u32 s29, s46, s23
	s_subb_u32 s33, s47, 0
	v_mad_u64_u32 v[22:23], s[46:47], s29, v32, v[6:7]
	s_mul_i32 s46, s29, s35
	s_mul_i32 s33, s33, s34
	s_add_i32 s33, s46, s33
	v_mad_u64_u32 v[24:25], s[46:47], s29, v32, v[0:1]
	v_add_u32_e32 v25, s33, v25
	v_mul_lo_u32 v26, s14, v25
	v_mul_lo_u32 v27, s15, v24
	v_mad_u64_u32 v[24:25], s[46:47], s14, v24, v[10:11]
	v_add_u32_e32 v23, s33, v23
	v_add3_u32 v25, v27, v25, v26
	s_mov_b64 s[46:47], 0
	v_mov_b64_e32 v[26:27], v[18:19]
	s_branch .LBB20_19
.LBB20_16:                              ;   in Loop: Header=BB20_19 Depth=3
	s_or_b64 exec, exec, s[50:51]
.LBB20_17:                              ;   in Loop: Header=BB20_19 Depth=3
	s_or_b64 exec, exec, s[48:49]
.LBB20_18:                              ;   in Loop: Header=BB20_19 Depth=3
	ds_write_b32 v34, v37
	s_waitcnt lgkmcnt(0)
	s_barrier
	ds_read2_b32 v[54:55], v30 offset1:32
	ds_read_b128 v[38:41], v31 offset:4096
	ds_read_b128 v[42:45], v31 offset:4112
	ds_read2_b32 v[56:57], v30 offset0:64 offset1:96
	ds_read_b128 v[46:49], v31 offset:4128
	ds_read_b128 v[50:53], v31 offset:4144
	ds_read2_b32 v[58:59], v30 offset0:128 offset1:160
	s_waitcnt lgkmcnt(5)
	v_fmac_f32_e32 v36, v54, v38
	v_fmac_f32_e32 v36, v55, v39
	ds_read2_b32 v[38:39], v30 offset0:192 offset1:224
	s_waitcnt lgkmcnt(4)
	v_fmac_f32_e32 v36, v56, v40
	v_fmac_f32_e32 v36, v57, v41
	s_waitcnt lgkmcnt(1)
	v_fmac_f32_e32 v36, v58, v42
	ds_read2_b32 v[40:41], v35 offset1:32
	v_fmac_f32_e32 v36, v59, v43
	s_waitcnt lgkmcnt(1)
	v_fmac_f32_e32 v36, v38, v44
	v_fmac_f32_e32 v36, v39, v45
	ds_read2_b32 v[38:39], v35 offset0:64 offset1:96
	ds_read2_b32 v[42:43], v35 offset0:128 offset1:160
	s_waitcnt lgkmcnt(2)
	v_fmac_f32_e32 v36, v40, v46
	v_fmac_f32_e32 v36, v41, v47
	ds_read2_b32 v[44:45], v35 offset0:192 offset1:224
	s_waitcnt lgkmcnt(2)
	v_fmac_f32_e32 v36, v38, v48
	v_add_u32_e32 v37, 0x800, v30
	v_fmac_f32_e32 v36, v39, v49
	ds_read2_b32 v[46:47], v37 offset1:32
	ds_read_b128 v[38:41], v31 offset:4160
	s_waitcnt lgkmcnt(3)
	v_fmac_f32_e32 v36, v42, v50
	v_fmac_f32_e32 v36, v43, v51
	s_waitcnt lgkmcnt(2)
	v_fmac_f32_e32 v36, v44, v52
	v_fmac_f32_e32 v36, v45, v53
	ds_read2_b32 v[48:49], v37 offset0:64 offset1:96
	ds_read2_b32 v[50:51], v37 offset0:128 offset1:160
	ds_read_b128 v[42:45], v31 offset:4176
	s_waitcnt lgkmcnt(3)
	v_fmac_f32_e32 v36, v46, v38
	v_fmac_f32_e32 v36, v47, v39
	ds_read2_b32 v[46:47], v37 offset0:192 offset1:224
	s_waitcnt lgkmcnt(3)
	v_fmac_f32_e32 v36, v48, v40
	v_fmac_f32_e32 v36, v49, v41
	v_add_u32_e32 v37, 0xc00, v30
	s_waitcnt lgkmcnt(1)
	v_fmac_f32_e32 v36, v50, v42
	ds_read2_b32 v[48:49], v37 offset1:32
	ds_read_b128 v[38:41], v31 offset:4192
	v_fmac_f32_e32 v36, v51, v43
	s_waitcnt lgkmcnt(2)
	v_fmac_f32_e32 v36, v46, v44
	v_fmac_f32_e32 v36, v47, v45
	ds_read2_b32 v[46:47], v37 offset0:64 offset1:96
	ds_read_b128 v[42:45], v31 offset:4208
	ds_read2_b32 v[50:51], v37 offset0:128 offset1:160
	s_waitcnt lgkmcnt(3)
	v_fmac_f32_e32 v36, v48, v38
	v_fmac_f32_e32 v36, v49, v39
	ds_read2_b32 v[38:39], v37 offset0:192 offset1:224
	s_waitcnt lgkmcnt(3)
	v_fmac_f32_e32 v36, v46, v40
	v_fmac_f32_e32 v36, v47, v41
	s_waitcnt lgkmcnt(1)
	v_fmac_f32_e32 v36, v50, v42
	v_fmac_f32_e32 v36, v51, v43
	s_waitcnt lgkmcnt(0)
	v_fmac_f32_e32 v36, v38, v44
	s_add_u32 s46, s46, 32
	v_fmac_f32_e32 v36, v39, v45
	s_addc_u32 s47, s47, 0
	v_mov_b64_e32 v[38:39], s[34:35]
	v_cmp_ge_i64_e32 vcc, s[46:47], v[38:39]
	v_lshl_add_u64 v[28:29], v[28:29], 0, 32
	v_lshl_add_u64 v[24:25], v[24:25], 0, s[8:9]
	v_lshl_add_u64 v[26:27], v[26:27], 0, s[12:13]
	s_barrier
	s_cbranch_vccnz .LBB20_14
.LBB20_19:                              ;   Parent Loop BB20_12 Depth=1
                                        ;     Parent Loop BB20_15 Depth=2
                                        ; =>    This Inner Loop Header: Depth=3
	s_mov_b64 s[48:49], -1
	s_and_b64 vcc, exec, s[6:7]
                                        ; implicit-def: $vgpr37
	s_cbranch_vccnz .LBB20_27
; %bb.20:                               ;   in Loop: Header=BB20_19 Depth=3
	s_andn2_b64 vcc, exec, s[48:49]
	s_cbranch_vccz .LBB20_32
.LBB20_21:                              ;   in Loop: Header=BB20_19 Depth=3
	s_and_b64 vcc, exec, s[26:27]
	ds_write_b32 v33, v37
	s_cbranch_vccz .LBB20_37
.LBB20_22:                              ;   in Loop: Header=BB20_19 Depth=3
	v_mov_b32_e32 v37, 0
	s_and_saveexec_b64 s[48:49], s[4:5]
	s_cbranch_execz .LBB20_26
; %bb.23:                               ;   in Loop: Header=BB20_19 Depth=3
	v_lshl_add_u64 v[38:39], v[2:3], 0, s[46:47]
	v_cmp_gt_i64_e32 vcc, s[34:35], v[38:39]
	v_mov_b32_e32 v37, 0
	s_and_saveexec_b64 s[50:51], vcc
	s_cbranch_execz .LBB20_25
; %bb.24:                               ;   in Loop: Header=BB20_19 Depth=3
	global_load_sbyte v37, v[26:27], off
	s_waitcnt vmcnt(0)
	v_cvt_f32_i32_e32 v37, v37
.LBB20_25:                              ;   in Loop: Header=BB20_19 Depth=3
	s_or_b64 exec, exec, s[50:51]
.LBB20_26:                              ;   in Loop: Header=BB20_19 Depth=3
	s_or_b64 exec, exec, s[48:49]
	s_cbranch_execnz .LBB20_18
	s_branch .LBB20_38
.LBB20_27:                              ;   in Loop: Header=BB20_19 Depth=3
	v_mov_b32_e32 v37, 0
	s_and_saveexec_b64 s[48:49], s[0:1]
	s_cbranch_execz .LBB20_31
; %bb.28:                               ;   in Loop: Header=BB20_19 Depth=3
	v_cmp_gt_i64_e32 vcc, s[34:35], v[28:29]
	v_mov_b32_e32 v37, 0
	s_and_saveexec_b64 s[50:51], vcc
	s_cbranch_execz .LBB20_30
; %bb.29:                               ;   in Loop: Header=BB20_19 Depth=3
	global_load_sbyte v37, v[24:25], off
	s_waitcnt vmcnt(0)
	v_cvt_f32_i32_e32 v37, v37
.LBB20_30:                              ;   in Loop: Header=BB20_19 Depth=3
	s_or_b64 exec, exec, s[50:51]
.LBB20_31:                              ;   in Loop: Header=BB20_19 Depth=3
	s_or_b64 exec, exec, s[48:49]
	s_cbranch_execnz .LBB20_21
.LBB20_32:                              ;   in Loop: Header=BB20_19 Depth=3
	v_mov_b32_e32 v37, 0
	s_and_saveexec_b64 s[48:49], s[0:1]
	s_cbranch_execz .LBB20_36
; %bb.33:                               ;   in Loop: Header=BB20_19 Depth=3
	v_cmp_gt_i64_e32 vcc, s[34:35], v[28:29]
	v_mov_b32_e32 v37, 0
	s_and_saveexec_b64 s[50:51], vcc
	s_cbranch_execz .LBB20_35
; %bb.34:                               ;   in Loop: Header=BB20_19 Depth=3
	v_lshl_add_u64 v[38:39], v[22:23], 0, v[28:29]
	global_load_sbyte v37, v[38:39], off
	s_waitcnt vmcnt(0)
	v_cvt_f32_i32_e32 v37, v37
.LBB20_35:                              ;   in Loop: Header=BB20_19 Depth=3
	s_or_b64 exec, exec, s[50:51]
.LBB20_36:                              ;   in Loop: Header=BB20_19 Depth=3
	s_or_b64 exec, exec, s[48:49]
	s_and_b64 vcc, exec, s[26:27]
	ds_write_b32 v33, v37
	s_cbranch_vccnz .LBB20_22
.LBB20_37:                              ;   in Loop: Header=BB20_19 Depth=3
                                        ; implicit-def: $vgpr37
.LBB20_38:                              ;   in Loop: Header=BB20_19 Depth=3
	v_mov_b32_e32 v37, 0
	s_and_saveexec_b64 s[48:49], s[4:5]
	s_cbranch_execz .LBB20_17
; %bb.39:                               ;   in Loop: Header=BB20_19 Depth=3
	v_lshl_add_u64 v[38:39], v[2:3], 0, s[46:47]
	v_cmp_gt_i64_e32 vcc, s[34:35], v[38:39]
	v_mov_b32_e32 v37, 0
	s_and_saveexec_b64 s[50:51], vcc
	s_cbranch_execz .LBB20_16
; %bb.40:                               ;   in Loop: Header=BB20_19 Depth=3
	v_lshl_add_u64 v[38:39], v[20:21], 0, s[46:47]
	global_load_sbyte v37, v[38:39], off
	s_waitcnt vmcnt(0)
	v_cvt_f32_i32_e32 v37, v37
	s_branch .LBB20_16
.LBB20_41:                              ;   in Loop: Header=BB20_12 Depth=1
	v_cmp_gt_i64_e32 vcc, s[34:35], v[16:17]
	s_and_b64 s[44:45], s[38:39], vcc
	s_and_saveexec_b64 s[4:5], s[44:45]
	s_cbranch_execz .LBB20_11
; %bb.42:                               ;   in Loop: Header=BB20_12 Depth=1
	v_lshl_add_u64 v[16:17], v[16:17], 0, s[36:37]
	s_mov_b64 s[44:45], -1
	s_and_b64 vcc, exec, s[40:41]
	s_cbranch_vccz .LBB20_48
; %bb.43:                               ;   in Loop: Header=BB20_12 Depth=1
	s_and_b64 vcc, exec, s[20:21]
	s_cbranch_vccz .LBB20_45
; %bb.44:                               ;   in Loop: Header=BB20_12 Depth=1
	v_mul_lo_u32 v20, v17, s10
	v_mul_lo_u32 v21, v16, s11
	v_mad_u64_u32 v[18:19], s[44:45], v16, s10, 0
	v_add3_u32 v19, v19, v21, v20
	v_lshl_add_u64 v[18:19], v[18:19], 2, v[4:5]
	global_load_dword v20, v[18:19], off
	v_mul_f32_e32 v21, s22, v36
	s_mov_b64 s[44:45], 0
	s_waitcnt vmcnt(0)
	v_fmac_f32_e32 v21, s28, v20
	global_store_dword v[18:19], v21, off
.LBB20_45:                              ;   in Loop: Header=BB20_12 Depth=1
	s_andn2_b64 vcc, exec, s[44:45]
	s_cbranch_vccnz .LBB20_47
; %bb.46:                               ;   in Loop: Header=BB20_12 Depth=1
	v_lshl_add_u64 v[18:19], v[16:17], 2, v[8:9]
	global_load_dword v20, v[18:19], off
	v_mul_f32_e32 v21, s22, v36
	s_waitcnt vmcnt(0)
	v_fmac_f32_e32 v21, s28, v20
	global_store_dword v[18:19], v21, off
.LBB20_47:                              ;   in Loop: Header=BB20_12 Depth=1
	s_mov_b64 s[44:45], 0
.LBB20_48:                              ;   in Loop: Header=BB20_12 Depth=1
	s_andn2_b64 vcc, exec, s[44:45]
	s_cbranch_vccnz .LBB20_11
; %bb.49:                               ;   in Loop: Header=BB20_12 Depth=1
	v_mul_f32_e32 v18, s22, v36
	s_mov_b64 s[44:45], -1
	s_and_b64 vcc, exec, s[20:21]
	s_cbranch_vccz .LBB20_51
; %bb.50:                               ;   in Loop: Header=BB20_12 Depth=1
	v_mul_lo_u32 v19, v17, s10
	v_mul_lo_u32 v22, v16, s11
	v_mad_u64_u32 v[20:21], s[44:45], v16, s10, 0
	v_add3_u32 v21, v21, v22, v19
	v_lshl_add_u64 v[20:21], v[20:21], 2, v[4:5]
	global_store_dword v[20:21], v18, off
	s_mov_b64 s[44:45], 0
.LBB20_51:                              ;   in Loop: Header=BB20_12 Depth=1
	s_andn2_b64 vcc, exec, s[44:45]
	s_cbranch_vccnz .LBB20_11
; %bb.52:                               ;   in Loop: Header=BB20_12 Depth=1
	v_lshl_add_u64 v[16:17], v[16:17], 2, v[8:9]
	global_store_dword v[16:17], v18, off
	s_branch .LBB20_11
.LBB20_53:
	s_endpgm
	.section	.rodata,"a",@progbits
	.p2align	6, 0x0
	.amdhsa_kernel _ZN9rocsparseL29bsrmm_general_blockdim_kernelILj32ELj32EllaaffEEvb20rocsparse_direction_T2_S2_llNS_24const_host_device_scalarIT6_EEPKT1_PKS2_PKT3_S2_PKT4_llS5_PT5_ll16rocsparse_order_21rocsparse_index_base_b
		.amdhsa_group_segment_fixed_size 8192
		.amdhsa_private_segment_fixed_size 0
		.amdhsa_kernarg_size 148
		.amdhsa_user_sgpr_count 2
		.amdhsa_user_sgpr_dispatch_ptr 0
		.amdhsa_user_sgpr_queue_ptr 0
		.amdhsa_user_sgpr_kernarg_segment_ptr 1
		.amdhsa_user_sgpr_dispatch_id 0
		.amdhsa_user_sgpr_kernarg_preload_length 0
		.amdhsa_user_sgpr_kernarg_preload_offset 0
		.amdhsa_user_sgpr_private_segment_size 0
		.amdhsa_uses_dynamic_stack 0
		.amdhsa_enable_private_segment 0
		.amdhsa_system_sgpr_workgroup_id_x 1
		.amdhsa_system_sgpr_workgroup_id_y 1
		.amdhsa_system_sgpr_workgroup_id_z 0
		.amdhsa_system_sgpr_workgroup_info 0
		.amdhsa_system_vgpr_workitem_id 1
		.amdhsa_next_free_vgpr 60
		.amdhsa_next_free_sgpr 52
		.amdhsa_accum_offset 60
		.amdhsa_reserve_vcc 1
		.amdhsa_float_round_mode_32 0
		.amdhsa_float_round_mode_16_64 0
		.amdhsa_float_denorm_mode_32 3
		.amdhsa_float_denorm_mode_16_64 3
		.amdhsa_dx10_clamp 1
		.amdhsa_ieee_mode 1
		.amdhsa_fp16_overflow 0
		.amdhsa_tg_split 0
		.amdhsa_exception_fp_ieee_invalid_op 0
		.amdhsa_exception_fp_denorm_src 0
		.amdhsa_exception_fp_ieee_div_zero 0
		.amdhsa_exception_fp_ieee_overflow 0
		.amdhsa_exception_fp_ieee_underflow 0
		.amdhsa_exception_fp_ieee_inexact 0
		.amdhsa_exception_int_div_zero 0
	.end_amdhsa_kernel
	.section	.text._ZN9rocsparseL29bsrmm_general_blockdim_kernelILj32ELj32EllaaffEEvb20rocsparse_direction_T2_S2_llNS_24const_host_device_scalarIT6_EEPKT1_PKS2_PKT3_S2_PKT4_llS5_PT5_ll16rocsparse_order_21rocsparse_index_base_b,"axG",@progbits,_ZN9rocsparseL29bsrmm_general_blockdim_kernelILj32ELj32EllaaffEEvb20rocsparse_direction_T2_S2_llNS_24const_host_device_scalarIT6_EEPKT1_PKS2_PKT3_S2_PKT4_llS5_PT5_ll16rocsparse_order_21rocsparse_index_base_b,comdat
.Lfunc_end20:
	.size	_ZN9rocsparseL29bsrmm_general_blockdim_kernelILj32ELj32EllaaffEEvb20rocsparse_direction_T2_S2_llNS_24const_host_device_scalarIT6_EEPKT1_PKS2_PKT3_S2_PKT4_llS5_PT5_ll16rocsparse_order_21rocsparse_index_base_b, .Lfunc_end20-_ZN9rocsparseL29bsrmm_general_blockdim_kernelILj32ELj32EllaaffEEvb20rocsparse_direction_T2_S2_llNS_24const_host_device_scalarIT6_EEPKT1_PKS2_PKT3_S2_PKT4_llS5_PT5_ll16rocsparse_order_21rocsparse_index_base_b
                                        ; -- End function
	.set _ZN9rocsparseL29bsrmm_general_blockdim_kernelILj32ELj32EllaaffEEvb20rocsparse_direction_T2_S2_llNS_24const_host_device_scalarIT6_EEPKT1_PKS2_PKT3_S2_PKT4_llS5_PT5_ll16rocsparse_order_21rocsparse_index_base_b.num_vgpr, 60
	.set _ZN9rocsparseL29bsrmm_general_blockdim_kernelILj32ELj32EllaaffEEvb20rocsparse_direction_T2_S2_llNS_24const_host_device_scalarIT6_EEPKT1_PKS2_PKT3_S2_PKT4_llS5_PT5_ll16rocsparse_order_21rocsparse_index_base_b.num_agpr, 0
	.set _ZN9rocsparseL29bsrmm_general_blockdim_kernelILj32ELj32EllaaffEEvb20rocsparse_direction_T2_S2_llNS_24const_host_device_scalarIT6_EEPKT1_PKS2_PKT3_S2_PKT4_llS5_PT5_ll16rocsparse_order_21rocsparse_index_base_b.numbered_sgpr, 52
	.set _ZN9rocsparseL29bsrmm_general_blockdim_kernelILj32ELj32EllaaffEEvb20rocsparse_direction_T2_S2_llNS_24const_host_device_scalarIT6_EEPKT1_PKS2_PKT3_S2_PKT4_llS5_PT5_ll16rocsparse_order_21rocsparse_index_base_b.num_named_barrier, 0
	.set _ZN9rocsparseL29bsrmm_general_blockdim_kernelILj32ELj32EllaaffEEvb20rocsparse_direction_T2_S2_llNS_24const_host_device_scalarIT6_EEPKT1_PKS2_PKT3_S2_PKT4_llS5_PT5_ll16rocsparse_order_21rocsparse_index_base_b.private_seg_size, 0
	.set _ZN9rocsparseL29bsrmm_general_blockdim_kernelILj32ELj32EllaaffEEvb20rocsparse_direction_T2_S2_llNS_24const_host_device_scalarIT6_EEPKT1_PKS2_PKT3_S2_PKT4_llS5_PT5_ll16rocsparse_order_21rocsparse_index_base_b.uses_vcc, 1
	.set _ZN9rocsparseL29bsrmm_general_blockdim_kernelILj32ELj32EllaaffEEvb20rocsparse_direction_T2_S2_llNS_24const_host_device_scalarIT6_EEPKT1_PKS2_PKT3_S2_PKT4_llS5_PT5_ll16rocsparse_order_21rocsparse_index_base_b.uses_flat_scratch, 0
	.set _ZN9rocsparseL29bsrmm_general_blockdim_kernelILj32ELj32EllaaffEEvb20rocsparse_direction_T2_S2_llNS_24const_host_device_scalarIT6_EEPKT1_PKS2_PKT3_S2_PKT4_llS5_PT5_ll16rocsparse_order_21rocsparse_index_base_b.has_dyn_sized_stack, 0
	.set _ZN9rocsparseL29bsrmm_general_blockdim_kernelILj32ELj32EllaaffEEvb20rocsparse_direction_T2_S2_llNS_24const_host_device_scalarIT6_EEPKT1_PKS2_PKT3_S2_PKT4_llS5_PT5_ll16rocsparse_order_21rocsparse_index_base_b.has_recursion, 0
	.set _ZN9rocsparseL29bsrmm_general_blockdim_kernelILj32ELj32EllaaffEEvb20rocsparse_direction_T2_S2_llNS_24const_host_device_scalarIT6_EEPKT1_PKS2_PKT3_S2_PKT4_llS5_PT5_ll16rocsparse_order_21rocsparse_index_base_b.has_indirect_call, 0
	.section	.AMDGPU.csdata,"",@progbits
; Kernel info:
; codeLenInByte = 2020
; TotalNumSgprs: 58
; NumVgprs: 60
; NumAgprs: 0
; TotalNumVgprs: 60
; ScratchSize: 0
; MemoryBound: 0
; FloatMode: 240
; IeeeMode: 1
; LDSByteSize: 8192 bytes/workgroup (compile time only)
; SGPRBlocks: 7
; VGPRBlocks: 7
; NumSGPRsForWavesPerEU: 58
; NumVGPRsForWavesPerEU: 60
; AccumOffset: 60
; Occupancy: 8
; WaveLimiterHint : 1
; COMPUTE_PGM_RSRC2:SCRATCH_EN: 0
; COMPUTE_PGM_RSRC2:USER_SGPR: 2
; COMPUTE_PGM_RSRC2:TRAP_HANDLER: 0
; COMPUTE_PGM_RSRC2:TGID_X_EN: 1
; COMPUTE_PGM_RSRC2:TGID_Y_EN: 1
; COMPUTE_PGM_RSRC2:TGID_Z_EN: 0
; COMPUTE_PGM_RSRC2:TIDIG_COMP_CNT: 1
; COMPUTE_PGM_RSRC3_GFX90A:ACCUM_OFFSET: 14
; COMPUTE_PGM_RSRC3_GFX90A:TG_SPLIT: 0
	.section	.AMDGPU.gpr_maximums,"",@progbits
	.set amdgpu.max_num_vgpr, 0
	.set amdgpu.max_num_agpr, 0
	.set amdgpu.max_num_sgpr, 0
	.section	.AMDGPU.csdata,"",@progbits
	.type	__hip_cuid_a63aeb65f30f3081,@object ; @__hip_cuid_a63aeb65f30f3081
	.section	.bss,"aw",@nobits
	.globl	__hip_cuid_a63aeb65f30f3081
__hip_cuid_a63aeb65f30f3081:
	.byte	0                               ; 0x0
	.size	__hip_cuid_a63aeb65f30f3081, 1

	.ident	"AMD clang version 22.0.0git (https://github.com/RadeonOpenCompute/llvm-project roc-7.2.4 26084 f58b06dce1f9c15707c5f808fd002e18c2accf7e)"
	.section	".note.GNU-stack","",@progbits
	.addrsig
	.addrsig_sym __hip_cuid_a63aeb65f30f3081
	.amdgpu_metadata
---
amdhsa.kernels:
  - .agpr_count:     0
    .args:
      - .offset:         0
        .size:           1
        .value_kind:     by_value
      - .offset:         4
        .size:           4
        .value_kind:     by_value
      - .offset:         8
        .size:           4
        .value_kind:     by_value
      - .offset:         12
        .size:           4
        .value_kind:     by_value
      - .offset:         16
        .size:           8
        .value_kind:     by_value
      - .offset:         24
        .size:           8
        .value_kind:     by_value
      - .offset:         32
        .size:           8
        .value_kind:     by_value
      - .actual_access:  read_only
        .address_space:  global
        .offset:         40
        .size:           8
        .value_kind:     global_buffer
      - .actual_access:  read_only
        .address_space:  global
        .offset:         48
        .size:           8
        .value_kind:     global_buffer
      - .actual_access:  read_only
        .address_space:  global
        .offset:         56
        .size:           8
        .value_kind:     global_buffer
      - .offset:         64
        .size:           4
        .value_kind:     by_value
      - .actual_access:  read_only
        .address_space:  global
        .offset:         72
        .size:           8
        .value_kind:     global_buffer
      - .offset:         80
        .size:           8
        .value_kind:     by_value
      - .offset:         88
        .size:           8
        .value_kind:     by_value
      - .offset:         96
        .size:           8
        .value_kind:     by_value
      - .address_space:  global
        .offset:         104
        .size:           8
        .value_kind:     global_buffer
      - .offset:         112
        .size:           8
        .value_kind:     by_value
      - .offset:         120
        .size:           8
        .value_kind:     by_value
      - .offset:         128
        .size:           4
        .value_kind:     by_value
      - .offset:         132
        .size:           4
        .value_kind:     by_value
      - .offset:         136
        .size:           1
        .value_kind:     by_value
    .group_segment_fixed_size: 8192
    .kernarg_segment_align: 8
    .kernarg_segment_size: 140
    .language:       OpenCL C
    .language_version:
      - 2
      - 0
    .max_flat_workgroup_size: 1024
    .name:           _ZN9rocsparseL29bsrmm_general_blockdim_kernelILj32ELj32EiiffffEEvb20rocsparse_direction_T2_S2_llNS_24const_host_device_scalarIT6_EEPKT1_PKS2_PKT3_S2_PKT4_llS5_PT5_ll16rocsparse_order_21rocsparse_index_base_b
    .private_segment_fixed_size: 0
    .sgpr_count:     54
    .sgpr_spill_count: 0
    .symbol:         _ZN9rocsparseL29bsrmm_general_blockdim_kernelILj32ELj32EiiffffEEvb20rocsparse_direction_T2_S2_llNS_24const_host_device_scalarIT6_EEPKT1_PKS2_PKT3_S2_PKT4_llS5_PT5_ll16rocsparse_order_21rocsparse_index_base_b.kd
    .uniform_work_group_size: 1
    .uses_dynamic_stack: false
    .vgpr_count:     44
    .vgpr_spill_count: 0
    .wavefront_size: 64
  - .agpr_count:     0
    .args:
      - .offset:         0
        .size:           1
        .value_kind:     by_value
      - .offset:         4
        .size:           4
        .value_kind:     by_value
      - .offset:         8
        .size:           4
        .value_kind:     by_value
      - .offset:         12
        .size:           4
        .value_kind:     by_value
      - .offset:         16
        .size:           8
        .value_kind:     by_value
      - .offset:         24
        .size:           8
        .value_kind:     by_value
      - .offset:         32
        .size:           8
        .value_kind:     by_value
      - .actual_access:  read_only
        .address_space:  global
        .offset:         40
        .size:           8
        .value_kind:     global_buffer
      - .actual_access:  read_only
        .address_space:  global
        .offset:         48
        .size:           8
        .value_kind:     global_buffer
      - .actual_access:  read_only
        .address_space:  global
        .offset:         56
        .size:           8
        .value_kind:     global_buffer
      - .offset:         64
        .size:           4
        .value_kind:     by_value
      - .actual_access:  read_only
        .address_space:  global
        .offset:         72
        .size:           8
        .value_kind:     global_buffer
      - .offset:         80
        .size:           8
        .value_kind:     by_value
      - .offset:         88
        .size:           8
        .value_kind:     by_value
      - .offset:         96
        .size:           8
        .value_kind:     by_value
      - .address_space:  global
        .offset:         104
        .size:           8
        .value_kind:     global_buffer
      - .offset:         112
        .size:           8
        .value_kind:     by_value
      - .offset:         120
        .size:           8
        .value_kind:     by_value
      - .offset:         128
        .size:           4
        .value_kind:     by_value
      - .offset:         132
        .size:           4
        .value_kind:     by_value
      - .offset:         136
        .size:           1
        .value_kind:     by_value
    .group_segment_fixed_size: 8192
    .kernarg_segment_align: 8
    .kernarg_segment_size: 140
    .language:       OpenCL C
    .language_version:
      - 2
      - 0
    .max_flat_workgroup_size: 1024
    .name:           _ZN9rocsparseL29bsrmm_general_blockdim_kernelILj32ELj32EliffffEEvb20rocsparse_direction_T2_S2_llNS_24const_host_device_scalarIT6_EEPKT1_PKS2_PKT3_S2_PKT4_llS5_PT5_ll16rocsparse_order_21rocsparse_index_base_b
    .private_segment_fixed_size: 0
    .sgpr_count:     53
    .sgpr_spill_count: 0
    .symbol:         _ZN9rocsparseL29bsrmm_general_blockdim_kernelILj32ELj32EliffffEEvb20rocsparse_direction_T2_S2_llNS_24const_host_device_scalarIT6_EEPKT1_PKS2_PKT3_S2_PKT4_llS5_PT5_ll16rocsparse_order_21rocsparse_index_base_b.kd
    .uniform_work_group_size: 1
    .uses_dynamic_stack: false
    .vgpr_count:     46
    .vgpr_spill_count: 0
    .wavefront_size: 64
  - .agpr_count:     0
    .args:
      - .offset:         0
        .size:           1
        .value_kind:     by_value
      - .offset:         4
        .size:           4
        .value_kind:     by_value
      - .offset:         8
        .size:           8
        .value_kind:     by_value
      - .offset:         16
        .size:           8
        .value_kind:     by_value
      - .offset:         24
        .size:           8
        .value_kind:     by_value
      - .offset:         32
        .size:           8
        .value_kind:     by_value
      - .offset:         40
        .size:           8
        .value_kind:     by_value
      - .actual_access:  read_only
        .address_space:  global
        .offset:         48
        .size:           8
        .value_kind:     global_buffer
      - .actual_access:  read_only
        .address_space:  global
        .offset:         56
        .size:           8
        .value_kind:     global_buffer
      - .actual_access:  read_only
        .address_space:  global
        .offset:         64
        .size:           8
        .value_kind:     global_buffer
      - .offset:         72
        .size:           8
        .value_kind:     by_value
      - .actual_access:  read_only
        .address_space:  global
        .offset:         80
        .size:           8
        .value_kind:     global_buffer
      - .offset:         88
        .size:           8
        .value_kind:     by_value
      - .offset:         96
        .size:           8
        .value_kind:     by_value
      - .offset:         104
        .size:           8
        .value_kind:     by_value
      - .address_space:  global
        .offset:         112
        .size:           8
        .value_kind:     global_buffer
      - .offset:         120
        .size:           8
        .value_kind:     by_value
      - .offset:         128
        .size:           8
        .value_kind:     by_value
      - .offset:         136
        .size:           4
        .value_kind:     by_value
      - .offset:         140
        .size:           4
        .value_kind:     by_value
      - .offset:         144
        .size:           1
        .value_kind:     by_value
    .group_segment_fixed_size: 8192
    .kernarg_segment_align: 8
    .kernarg_segment_size: 148
    .language:       OpenCL C
    .language_version:
      - 2
      - 0
    .max_flat_workgroup_size: 1024
    .name:           _ZN9rocsparseL29bsrmm_general_blockdim_kernelILj32ELj32EllffffEEvb20rocsparse_direction_T2_S2_llNS_24const_host_device_scalarIT6_EEPKT1_PKS2_PKT3_S2_PKT4_llS5_PT5_ll16rocsparse_order_21rocsparse_index_base_b
    .private_segment_fixed_size: 0
    .sgpr_count:     62
    .sgpr_spill_count: 0
    .symbol:         _ZN9rocsparseL29bsrmm_general_blockdim_kernelILj32ELj32EllffffEEvb20rocsparse_direction_T2_S2_llNS_24const_host_device_scalarIT6_EEPKT1_PKS2_PKT3_S2_PKT4_llS5_PT5_ll16rocsparse_order_21rocsparse_index_base_b.kd
    .uniform_work_group_size: 1
    .uses_dynamic_stack: false
    .vgpr_count:     56
    .vgpr_spill_count: 0
    .wavefront_size: 64
  - .agpr_count:     0
    .args:
      - .offset:         0
        .size:           1
        .value_kind:     by_value
      - .offset:         4
        .size:           4
        .value_kind:     by_value
      - .offset:         8
        .size:           4
        .value_kind:     by_value
      - .offset:         12
        .size:           4
        .value_kind:     by_value
      - .offset:         16
        .size:           8
        .value_kind:     by_value
      - .offset:         24
        .size:           8
        .value_kind:     by_value
      - .offset:         32
        .size:           8
        .value_kind:     by_value
      - .actual_access:  read_only
        .address_space:  global
        .offset:         40
        .size:           8
        .value_kind:     global_buffer
      - .actual_access:  read_only
        .address_space:  global
        .offset:         48
        .size:           8
        .value_kind:     global_buffer
      - .actual_access:  read_only
        .address_space:  global
        .offset:         56
        .size:           8
        .value_kind:     global_buffer
      - .offset:         64
        .size:           4
        .value_kind:     by_value
      - .actual_access:  read_only
        .address_space:  global
        .offset:         72
        .size:           8
        .value_kind:     global_buffer
      - .offset:         80
        .size:           8
        .value_kind:     by_value
      - .offset:         88
        .size:           8
        .value_kind:     by_value
      - .offset:         96
        .size:           8
        .value_kind:     by_value
      - .address_space:  global
        .offset:         104
        .size:           8
        .value_kind:     global_buffer
      - .offset:         112
        .size:           8
        .value_kind:     by_value
      - .offset:         120
        .size:           8
        .value_kind:     by_value
      - .offset:         128
        .size:           4
        .value_kind:     by_value
      - .offset:         132
        .size:           4
        .value_kind:     by_value
      - .offset:         136
        .size:           1
        .value_kind:     by_value
    .group_segment_fixed_size: 16384
    .kernarg_segment_align: 8
    .kernarg_segment_size: 140
    .language:       OpenCL C
    .language_version:
      - 2
      - 0
    .max_flat_workgroup_size: 1024
    .name:           _ZN9rocsparseL29bsrmm_general_blockdim_kernelILj32ELj32EiiddddEEvb20rocsparse_direction_T2_S2_llNS_24const_host_device_scalarIT6_EEPKT1_PKS2_PKT3_S2_PKT4_llS5_PT5_ll16rocsparse_order_21rocsparse_index_base_b
    .private_segment_fixed_size: 0
    .sgpr_count:     52
    .sgpr_spill_count: 0
    .symbol:         _ZN9rocsparseL29bsrmm_general_blockdim_kernelILj32ELj32EiiddddEEvb20rocsparse_direction_T2_S2_llNS_24const_host_device_scalarIT6_EEPKT1_PKS2_PKT3_S2_PKT4_llS5_PT5_ll16rocsparse_order_21rocsparse_index_base_b.kd
    .uniform_work_group_size: 1
    .uses_dynamic_stack: false
    .vgpr_count:     56
    .vgpr_spill_count: 0
    .wavefront_size: 64
  - .agpr_count:     0
    .args:
      - .offset:         0
        .size:           1
        .value_kind:     by_value
      - .offset:         4
        .size:           4
        .value_kind:     by_value
      - .offset:         8
        .size:           4
        .value_kind:     by_value
      - .offset:         12
        .size:           4
        .value_kind:     by_value
      - .offset:         16
        .size:           8
        .value_kind:     by_value
      - .offset:         24
        .size:           8
        .value_kind:     by_value
      - .offset:         32
        .size:           8
        .value_kind:     by_value
      - .actual_access:  read_only
        .address_space:  global
        .offset:         40
        .size:           8
        .value_kind:     global_buffer
      - .actual_access:  read_only
        .address_space:  global
        .offset:         48
        .size:           8
        .value_kind:     global_buffer
      - .actual_access:  read_only
        .address_space:  global
        .offset:         56
        .size:           8
        .value_kind:     global_buffer
      - .offset:         64
        .size:           4
        .value_kind:     by_value
      - .actual_access:  read_only
        .address_space:  global
        .offset:         72
        .size:           8
        .value_kind:     global_buffer
      - .offset:         80
        .size:           8
        .value_kind:     by_value
      - .offset:         88
        .size:           8
        .value_kind:     by_value
      - .offset:         96
        .size:           8
        .value_kind:     by_value
      - .address_space:  global
        .offset:         104
        .size:           8
        .value_kind:     global_buffer
      - .offset:         112
        .size:           8
        .value_kind:     by_value
      - .offset:         120
        .size:           8
        .value_kind:     by_value
      - .offset:         128
        .size:           4
        .value_kind:     by_value
      - .offset:         132
        .size:           4
        .value_kind:     by_value
      - .offset:         136
        .size:           1
        .value_kind:     by_value
    .group_segment_fixed_size: 16384
    .kernarg_segment_align: 8
    .kernarg_segment_size: 140
    .language:       OpenCL C
    .language_version:
      - 2
      - 0
    .max_flat_workgroup_size: 1024
    .name:           _ZN9rocsparseL29bsrmm_general_blockdim_kernelILj32ELj32EliddddEEvb20rocsparse_direction_T2_S2_llNS_24const_host_device_scalarIT6_EEPKT1_PKS2_PKT3_S2_PKT4_llS5_PT5_ll16rocsparse_order_21rocsparse_index_base_b
    .private_segment_fixed_size: 0
    .sgpr_count:     53
    .sgpr_spill_count: 0
    .symbol:         _ZN9rocsparseL29bsrmm_general_blockdim_kernelILj32ELj32EliddddEEvb20rocsparse_direction_T2_S2_llNS_24const_host_device_scalarIT6_EEPKT1_PKS2_PKT3_S2_PKT4_llS5_PT5_ll16rocsparse_order_21rocsparse_index_base_b.kd
    .uniform_work_group_size: 1
    .uses_dynamic_stack: false
    .vgpr_count:     56
    .vgpr_spill_count: 0
    .wavefront_size: 64
  - .agpr_count:     0
    .args:
      - .offset:         0
        .size:           1
        .value_kind:     by_value
      - .offset:         4
        .size:           4
        .value_kind:     by_value
      - .offset:         8
        .size:           8
        .value_kind:     by_value
      - .offset:         16
        .size:           8
        .value_kind:     by_value
      - .offset:         24
        .size:           8
        .value_kind:     by_value
      - .offset:         32
        .size:           8
        .value_kind:     by_value
      - .offset:         40
        .size:           8
        .value_kind:     by_value
      - .actual_access:  read_only
        .address_space:  global
        .offset:         48
        .size:           8
        .value_kind:     global_buffer
      - .actual_access:  read_only
        .address_space:  global
        .offset:         56
        .size:           8
        .value_kind:     global_buffer
      - .actual_access:  read_only
        .address_space:  global
        .offset:         64
        .size:           8
        .value_kind:     global_buffer
      - .offset:         72
        .size:           8
        .value_kind:     by_value
      - .actual_access:  read_only
        .address_space:  global
        .offset:         80
        .size:           8
        .value_kind:     global_buffer
      - .offset:         88
        .size:           8
        .value_kind:     by_value
      - .offset:         96
        .size:           8
        .value_kind:     by_value
      - .offset:         104
        .size:           8
        .value_kind:     by_value
      - .address_space:  global
        .offset:         112
        .size:           8
        .value_kind:     global_buffer
      - .offset:         120
        .size:           8
        .value_kind:     by_value
      - .offset:         128
        .size:           8
        .value_kind:     by_value
      - .offset:         136
        .size:           4
        .value_kind:     by_value
      - .offset:         140
        .size:           4
        .value_kind:     by_value
      - .offset:         144
        .size:           1
        .value_kind:     by_value
    .group_segment_fixed_size: 16384
    .kernarg_segment_align: 8
    .kernarg_segment_size: 148
    .language:       OpenCL C
    .language_version:
      - 2
      - 0
    .max_flat_workgroup_size: 1024
    .name:           _ZN9rocsparseL29bsrmm_general_blockdim_kernelILj32ELj32EllddddEEvb20rocsparse_direction_T2_S2_llNS_24const_host_device_scalarIT6_EEPKT1_PKS2_PKT3_S2_PKT4_llS5_PT5_ll16rocsparse_order_21rocsparse_index_base_b
    .private_segment_fixed_size: 0
    .sgpr_count:     58
    .sgpr_spill_count: 0
    .symbol:         _ZN9rocsparseL29bsrmm_general_blockdim_kernelILj32ELj32EllddddEEvb20rocsparse_direction_T2_S2_llNS_24const_host_device_scalarIT6_EEPKT1_PKS2_PKT3_S2_PKT4_llS5_PT5_ll16rocsparse_order_21rocsparse_index_base_b.kd
    .uniform_work_group_size: 1
    .uses_dynamic_stack: false
    .vgpr_count:     70
    .vgpr_spill_count: 0
    .wavefront_size: 64
  - .agpr_count:     0
    .args:
      - .offset:         0
        .size:           1
        .value_kind:     by_value
      - .offset:         4
        .size:           4
        .value_kind:     by_value
      - .offset:         8
        .size:           4
        .value_kind:     by_value
      - .offset:         12
        .size:           4
        .value_kind:     by_value
      - .offset:         16
        .size:           8
        .value_kind:     by_value
      - .offset:         24
        .size:           8
        .value_kind:     by_value
      - .offset:         32
        .size:           8
        .value_kind:     by_value
      - .actual_access:  read_only
        .address_space:  global
        .offset:         40
        .size:           8
        .value_kind:     global_buffer
      - .actual_access:  read_only
        .address_space:  global
        .offset:         48
        .size:           8
        .value_kind:     global_buffer
      - .actual_access:  read_only
        .address_space:  global
        .offset:         56
        .size:           8
        .value_kind:     global_buffer
      - .offset:         64
        .size:           4
        .value_kind:     by_value
      - .actual_access:  read_only
        .address_space:  global
        .offset:         72
        .size:           8
        .value_kind:     global_buffer
      - .offset:         80
        .size:           8
        .value_kind:     by_value
      - .offset:         88
        .size:           8
        .value_kind:     by_value
      - .offset:         96
        .size:           8
        .value_kind:     by_value
      - .address_space:  global
        .offset:         104
        .size:           8
        .value_kind:     global_buffer
      - .offset:         112
        .size:           8
        .value_kind:     by_value
      - .offset:         120
        .size:           8
        .value_kind:     by_value
      - .offset:         128
        .size:           4
        .value_kind:     by_value
      - .offset:         132
        .size:           4
        .value_kind:     by_value
      - .offset:         136
        .size:           1
        .value_kind:     by_value
    .group_segment_fixed_size: 16384
    .kernarg_segment_align: 8
    .kernarg_segment_size: 140
    .language:       OpenCL C
    .language_version:
      - 2
      - 0
    .max_flat_workgroup_size: 1024
    .name:           _ZN9rocsparseL29bsrmm_general_blockdim_kernelILj32ELj32Eii21rocsparse_complex_numIfES2_S2_S2_EEvb20rocsparse_direction_T2_S4_llNS_24const_host_device_scalarIT6_EEPKT1_PKS4_PKT3_S4_PKT4_llS7_PT5_ll16rocsparse_order_21rocsparse_index_base_b
    .private_segment_fixed_size: 0
    .sgpr_count:     52
    .sgpr_spill_count: 0
    .symbol:         _ZN9rocsparseL29bsrmm_general_blockdim_kernelILj32ELj32Eii21rocsparse_complex_numIfES2_S2_S2_EEvb20rocsparse_direction_T2_S4_llNS_24const_host_device_scalarIT6_EEPKT1_PKS4_PKT3_S4_PKT4_llS7_PT5_ll16rocsparse_order_21rocsparse_index_base_b.kd
    .uniform_work_group_size: 1
    .uses_dynamic_stack: false
    .vgpr_count:     56
    .vgpr_spill_count: 0
    .wavefront_size: 64
  - .agpr_count:     0
    .args:
      - .offset:         0
        .size:           1
        .value_kind:     by_value
      - .offset:         4
        .size:           4
        .value_kind:     by_value
      - .offset:         8
        .size:           4
        .value_kind:     by_value
      - .offset:         12
        .size:           4
        .value_kind:     by_value
      - .offset:         16
        .size:           8
        .value_kind:     by_value
      - .offset:         24
        .size:           8
        .value_kind:     by_value
      - .offset:         32
        .size:           8
        .value_kind:     by_value
      - .actual_access:  read_only
        .address_space:  global
        .offset:         40
        .size:           8
        .value_kind:     global_buffer
      - .actual_access:  read_only
        .address_space:  global
        .offset:         48
        .size:           8
        .value_kind:     global_buffer
      - .actual_access:  read_only
        .address_space:  global
        .offset:         56
        .size:           8
        .value_kind:     global_buffer
      - .offset:         64
        .size:           4
        .value_kind:     by_value
      - .actual_access:  read_only
        .address_space:  global
        .offset:         72
        .size:           8
        .value_kind:     global_buffer
      - .offset:         80
        .size:           8
        .value_kind:     by_value
      - .offset:         88
        .size:           8
        .value_kind:     by_value
      - .offset:         96
        .size:           8
        .value_kind:     by_value
      - .address_space:  global
        .offset:         104
        .size:           8
        .value_kind:     global_buffer
      - .offset:         112
        .size:           8
        .value_kind:     by_value
      - .offset:         120
        .size:           8
        .value_kind:     by_value
      - .offset:         128
        .size:           4
        .value_kind:     by_value
      - .offset:         132
        .size:           4
        .value_kind:     by_value
      - .offset:         136
        .size:           1
        .value_kind:     by_value
    .group_segment_fixed_size: 16384
    .kernarg_segment_align: 8
    .kernarg_segment_size: 140
    .language:       OpenCL C
    .language_version:
      - 2
      - 0
    .max_flat_workgroup_size: 1024
    .name:           _ZN9rocsparseL29bsrmm_general_blockdim_kernelILj32ELj32Eli21rocsparse_complex_numIfES2_S2_S2_EEvb20rocsparse_direction_T2_S4_llNS_24const_host_device_scalarIT6_EEPKT1_PKS4_PKT3_S4_PKT4_llS7_PT5_ll16rocsparse_order_21rocsparse_index_base_b
    .private_segment_fixed_size: 0
    .sgpr_count:     56
    .sgpr_spill_count: 0
    .symbol:         _ZN9rocsparseL29bsrmm_general_blockdim_kernelILj32ELj32Eli21rocsparse_complex_numIfES2_S2_S2_EEvb20rocsparse_direction_T2_S4_llNS_24const_host_device_scalarIT6_EEPKT1_PKS4_PKT3_S4_PKT4_llS7_PT5_ll16rocsparse_order_21rocsparse_index_base_b.kd
    .uniform_work_group_size: 1
    .uses_dynamic_stack: false
    .vgpr_count:     54
    .vgpr_spill_count: 0
    .wavefront_size: 64
  - .agpr_count:     0
    .args:
      - .offset:         0
        .size:           1
        .value_kind:     by_value
      - .offset:         4
        .size:           4
        .value_kind:     by_value
      - .offset:         8
        .size:           8
        .value_kind:     by_value
      - .offset:         16
        .size:           8
        .value_kind:     by_value
      - .offset:         24
        .size:           8
        .value_kind:     by_value
      - .offset:         32
        .size:           8
        .value_kind:     by_value
      - .offset:         40
        .size:           8
        .value_kind:     by_value
      - .actual_access:  read_only
        .address_space:  global
        .offset:         48
        .size:           8
        .value_kind:     global_buffer
      - .actual_access:  read_only
        .address_space:  global
        .offset:         56
        .size:           8
        .value_kind:     global_buffer
      - .actual_access:  read_only
        .address_space:  global
        .offset:         64
        .size:           8
        .value_kind:     global_buffer
      - .offset:         72
        .size:           8
        .value_kind:     by_value
      - .actual_access:  read_only
        .address_space:  global
        .offset:         80
        .size:           8
        .value_kind:     global_buffer
      - .offset:         88
        .size:           8
        .value_kind:     by_value
      - .offset:         96
        .size:           8
        .value_kind:     by_value
      - .offset:         104
        .size:           8
        .value_kind:     by_value
      - .address_space:  global
        .offset:         112
        .size:           8
        .value_kind:     global_buffer
      - .offset:         120
        .size:           8
        .value_kind:     by_value
      - .offset:         128
        .size:           8
        .value_kind:     by_value
      - .offset:         136
        .size:           4
        .value_kind:     by_value
      - .offset:         140
        .size:           4
        .value_kind:     by_value
      - .offset:         144
        .size:           1
        .value_kind:     by_value
    .group_segment_fixed_size: 16384
    .kernarg_segment_align: 8
    .kernarg_segment_size: 148
    .language:       OpenCL C
    .language_version:
      - 2
      - 0
    .max_flat_workgroup_size: 1024
    .name:           _ZN9rocsparseL29bsrmm_general_blockdim_kernelILj32ELj32Ell21rocsparse_complex_numIfES2_S2_S2_EEvb20rocsparse_direction_T2_S4_llNS_24const_host_device_scalarIT6_EEPKT1_PKS4_PKT3_S4_PKT4_llS7_PT5_ll16rocsparse_order_21rocsparse_index_base_b
    .private_segment_fixed_size: 0
    .sgpr_count:     68
    .sgpr_spill_count: 0
    .symbol:         _ZN9rocsparseL29bsrmm_general_blockdim_kernelILj32ELj32Ell21rocsparse_complex_numIfES2_S2_S2_EEvb20rocsparse_direction_T2_S4_llNS_24const_host_device_scalarIT6_EEPKT1_PKS4_PKT3_S4_PKT4_llS7_PT5_ll16rocsparse_order_21rocsparse_index_base_b.kd
    .uniform_work_group_size: 1
    .uses_dynamic_stack: false
    .vgpr_count:     70
    .vgpr_spill_count: 0
    .wavefront_size: 64
  - .agpr_count:     0
    .args:
      - .offset:         0
        .size:           1
        .value_kind:     by_value
      - .offset:         4
        .size:           4
        .value_kind:     by_value
      - .offset:         8
        .size:           4
        .value_kind:     by_value
      - .offset:         12
        .size:           4
        .value_kind:     by_value
      - .offset:         16
        .size:           8
        .value_kind:     by_value
      - .offset:         24
        .size:           8
        .value_kind:     by_value
      - .offset:         32
        .size:           16
        .value_kind:     by_value
      - .actual_access:  read_only
        .address_space:  global
        .offset:         48
        .size:           8
        .value_kind:     global_buffer
      - .actual_access:  read_only
        .address_space:  global
        .offset:         56
        .size:           8
        .value_kind:     global_buffer
      - .actual_access:  read_only
        .address_space:  global
        .offset:         64
        .size:           8
        .value_kind:     global_buffer
      - .offset:         72
        .size:           4
        .value_kind:     by_value
      - .actual_access:  read_only
        .address_space:  global
        .offset:         80
        .size:           8
        .value_kind:     global_buffer
      - .offset:         88
        .size:           8
        .value_kind:     by_value
      - .offset:         96
        .size:           8
        .value_kind:     by_value
      - .offset:         104
        .size:           16
        .value_kind:     by_value
      - .address_space:  global
        .offset:         120
        .size:           8
        .value_kind:     global_buffer
      - .offset:         128
        .size:           8
        .value_kind:     by_value
      - .offset:         136
        .size:           8
        .value_kind:     by_value
      - .offset:         144
        .size:           4
        .value_kind:     by_value
      - .offset:         148
        .size:           4
        .value_kind:     by_value
      - .offset:         152
        .size:           1
        .value_kind:     by_value
    .group_segment_fixed_size: 32768
    .kernarg_segment_align: 8
    .kernarg_segment_size: 156
    .language:       OpenCL C
    .language_version:
      - 2
      - 0
    .max_flat_workgroup_size: 1024
    .name:           _ZN9rocsparseL29bsrmm_general_blockdim_kernelILj32ELj32Eii21rocsparse_complex_numIdES2_S2_S2_EEvb20rocsparse_direction_T2_S4_llNS_24const_host_device_scalarIT6_EEPKT1_PKS4_PKT3_S4_PKT4_llS7_PT5_ll16rocsparse_order_21rocsparse_index_base_b
    .private_segment_fixed_size: 0
    .sgpr_count:     52
    .sgpr_spill_count: 0
    .symbol:         _ZN9rocsparseL29bsrmm_general_blockdim_kernelILj32ELj32Eii21rocsparse_complex_numIdES2_S2_S2_EEvb20rocsparse_direction_T2_S4_llNS_24const_host_device_scalarIT6_EEPKT1_PKS4_PKT3_S4_PKT4_llS7_PT5_ll16rocsparse_order_21rocsparse_index_base_b.kd
    .uniform_work_group_size: 1
    .uses_dynamic_stack: false
    .vgpr_count:     56
    .vgpr_spill_count: 0
    .wavefront_size: 64
  - .agpr_count:     0
    .args:
      - .offset:         0
        .size:           1
        .value_kind:     by_value
      - .offset:         4
        .size:           4
        .value_kind:     by_value
      - .offset:         8
        .size:           4
        .value_kind:     by_value
      - .offset:         12
        .size:           4
        .value_kind:     by_value
      - .offset:         16
        .size:           8
        .value_kind:     by_value
      - .offset:         24
        .size:           8
        .value_kind:     by_value
      - .offset:         32
        .size:           16
        .value_kind:     by_value
      - .actual_access:  read_only
        .address_space:  global
        .offset:         48
        .size:           8
        .value_kind:     global_buffer
      - .actual_access:  read_only
        .address_space:  global
        .offset:         56
        .size:           8
        .value_kind:     global_buffer
      - .actual_access:  read_only
        .address_space:  global
        .offset:         64
        .size:           8
        .value_kind:     global_buffer
      - .offset:         72
        .size:           4
        .value_kind:     by_value
      - .actual_access:  read_only
        .address_space:  global
        .offset:         80
        .size:           8
        .value_kind:     global_buffer
      - .offset:         88
        .size:           8
        .value_kind:     by_value
      - .offset:         96
        .size:           8
        .value_kind:     by_value
      - .offset:         104
        .size:           16
        .value_kind:     by_value
      - .address_space:  global
        .offset:         120
        .size:           8
        .value_kind:     global_buffer
      - .offset:         128
        .size:           8
        .value_kind:     by_value
      - .offset:         136
        .size:           8
        .value_kind:     by_value
      - .offset:         144
        .size:           4
        .value_kind:     by_value
      - .offset:         148
        .size:           4
        .value_kind:     by_value
      - .offset:         152
        .size:           1
        .value_kind:     by_value
    .group_segment_fixed_size: 32768
    .kernarg_segment_align: 8
    .kernarg_segment_size: 156
    .language:       OpenCL C
    .language_version:
      - 2
      - 0
    .max_flat_workgroup_size: 1024
    .name:           _ZN9rocsparseL29bsrmm_general_blockdim_kernelILj32ELj32Eli21rocsparse_complex_numIdES2_S2_S2_EEvb20rocsparse_direction_T2_S4_llNS_24const_host_device_scalarIT6_EEPKT1_PKS4_PKT3_S4_PKT4_llS7_PT5_ll16rocsparse_order_21rocsparse_index_base_b
    .private_segment_fixed_size: 0
    .sgpr_count:     56
    .sgpr_spill_count: 0
    .symbol:         _ZN9rocsparseL29bsrmm_general_blockdim_kernelILj32ELj32Eli21rocsparse_complex_numIdES2_S2_S2_EEvb20rocsparse_direction_T2_S4_llNS_24const_host_device_scalarIT6_EEPKT1_PKS4_PKT3_S4_PKT4_llS7_PT5_ll16rocsparse_order_21rocsparse_index_base_b.kd
    .uniform_work_group_size: 1
    .uses_dynamic_stack: false
    .vgpr_count:     54
    .vgpr_spill_count: 0
    .wavefront_size: 64
  - .agpr_count:     0
    .args:
      - .offset:         0
        .size:           1
        .value_kind:     by_value
      - .offset:         4
        .size:           4
        .value_kind:     by_value
      - .offset:         8
        .size:           8
        .value_kind:     by_value
      - .offset:         16
        .size:           8
        .value_kind:     by_value
      - .offset:         24
        .size:           8
        .value_kind:     by_value
      - .offset:         32
        .size:           8
        .value_kind:     by_value
      - .offset:         40
        .size:           16
        .value_kind:     by_value
      - .actual_access:  read_only
        .address_space:  global
        .offset:         56
        .size:           8
        .value_kind:     global_buffer
      - .actual_access:  read_only
        .address_space:  global
        .offset:         64
        .size:           8
        .value_kind:     global_buffer
      - .actual_access:  read_only
        .address_space:  global
        .offset:         72
        .size:           8
        .value_kind:     global_buffer
      - .offset:         80
        .size:           8
        .value_kind:     by_value
      - .actual_access:  read_only
        .address_space:  global
        .offset:         88
        .size:           8
        .value_kind:     global_buffer
      - .offset:         96
        .size:           8
        .value_kind:     by_value
      - .offset:         104
        .size:           8
        .value_kind:     by_value
      - .offset:         112
        .size:           16
        .value_kind:     by_value
      - .address_space:  global
        .offset:         128
        .size:           8
        .value_kind:     global_buffer
      - .offset:         136
        .size:           8
        .value_kind:     by_value
      - .offset:         144
        .size:           8
        .value_kind:     by_value
      - .offset:         152
        .size:           4
        .value_kind:     by_value
      - .offset:         156
        .size:           4
        .value_kind:     by_value
      - .offset:         160
        .size:           1
        .value_kind:     by_value
    .group_segment_fixed_size: 32768
    .kernarg_segment_align: 8
    .kernarg_segment_size: 164
    .language:       OpenCL C
    .language_version:
      - 2
      - 0
    .max_flat_workgroup_size: 1024
    .name:           _ZN9rocsparseL29bsrmm_general_blockdim_kernelILj32ELj32Ell21rocsparse_complex_numIdES2_S2_S2_EEvb20rocsparse_direction_T2_S4_llNS_24const_host_device_scalarIT6_EEPKT1_PKS4_PKT3_S4_PKT4_llS7_PT5_ll16rocsparse_order_21rocsparse_index_base_b
    .private_segment_fixed_size: 0
    .sgpr_count:     68
    .sgpr_spill_count: 0
    .symbol:         _ZN9rocsparseL29bsrmm_general_blockdim_kernelILj32ELj32Ell21rocsparse_complex_numIdES2_S2_S2_EEvb20rocsparse_direction_T2_S4_llNS_24const_host_device_scalarIT6_EEPKT1_PKS4_PKT3_S4_PKT4_llS7_PT5_ll16rocsparse_order_21rocsparse_index_base_b.kd
    .uniform_work_group_size: 1
    .uses_dynamic_stack: false
    .vgpr_count:     68
    .vgpr_spill_count: 0
    .wavefront_size: 64
  - .agpr_count:     0
    .args:
      - .offset:         0
        .size:           1
        .value_kind:     by_value
      - .offset:         4
        .size:           4
        .value_kind:     by_value
      - .offset:         8
        .size:           4
        .value_kind:     by_value
      - .offset:         12
        .size:           4
        .value_kind:     by_value
      - .offset:         16
        .size:           8
        .value_kind:     by_value
      - .offset:         24
        .size:           8
        .value_kind:     by_value
      - .offset:         32
        .size:           8
        .value_kind:     by_value
      - .actual_access:  read_only
        .address_space:  global
        .offset:         40
        .size:           8
        .value_kind:     global_buffer
      - .actual_access:  read_only
        .address_space:  global
        .offset:         48
        .size:           8
        .value_kind:     global_buffer
      - .actual_access:  read_only
        .address_space:  global
        .offset:         56
        .size:           8
        .value_kind:     global_buffer
      - .offset:         64
        .size:           4
        .value_kind:     by_value
      - .actual_access:  read_only
        .address_space:  global
        .offset:         72
        .size:           8
        .value_kind:     global_buffer
      - .offset:         80
        .size:           8
        .value_kind:     by_value
      - .offset:         88
        .size:           8
        .value_kind:     by_value
      - .offset:         96
        .size:           8
        .value_kind:     by_value
      - .address_space:  global
        .offset:         104
        .size:           8
        .value_kind:     global_buffer
      - .offset:         112
        .size:           8
        .value_kind:     by_value
      - .offset:         120
        .size:           8
        .value_kind:     by_value
      - .offset:         128
        .size:           4
        .value_kind:     by_value
      - .offset:         132
        .size:           4
        .value_kind:     by_value
      - .offset:         136
        .size:           1
        .value_kind:     by_value
    .group_segment_fixed_size: 8192
    .kernarg_segment_align: 8
    .kernarg_segment_size: 140
    .language:       OpenCL C
    .language_version:
      - 2
      - 0
    .max_flat_workgroup_size: 1024
    .name:           _ZN9rocsparseL29bsrmm_general_blockdim_kernelILj32ELj32EiiDF16_DF16_ffEEvb20rocsparse_direction_T2_S2_llNS_24const_host_device_scalarIT6_EEPKT1_PKS2_PKT3_S2_PKT4_llS5_PT5_ll16rocsparse_order_21rocsparse_index_base_b
    .private_segment_fixed_size: 0
    .sgpr_count:     54
    .sgpr_spill_count: 0
    .symbol:         _ZN9rocsparseL29bsrmm_general_blockdim_kernelILj32ELj32EiiDF16_DF16_ffEEvb20rocsparse_direction_T2_S2_llNS_24const_host_device_scalarIT6_EEPKT1_PKS2_PKT3_S2_PKT4_llS5_PT5_ll16rocsparse_order_21rocsparse_index_base_b.kd
    .uniform_work_group_size: 1
    .uses_dynamic_stack: false
    .vgpr_count:     44
    .vgpr_spill_count: 0
    .wavefront_size: 64
  - .agpr_count:     0
    .args:
      - .offset:         0
        .size:           1
        .value_kind:     by_value
      - .offset:         4
        .size:           4
        .value_kind:     by_value
      - .offset:         8
        .size:           4
        .value_kind:     by_value
      - .offset:         12
        .size:           4
        .value_kind:     by_value
      - .offset:         16
        .size:           8
        .value_kind:     by_value
      - .offset:         24
        .size:           8
        .value_kind:     by_value
      - .offset:         32
        .size:           8
        .value_kind:     by_value
      - .actual_access:  read_only
        .address_space:  global
        .offset:         40
        .size:           8
        .value_kind:     global_buffer
      - .actual_access:  read_only
        .address_space:  global
        .offset:         48
        .size:           8
        .value_kind:     global_buffer
      - .actual_access:  read_only
        .address_space:  global
        .offset:         56
        .size:           8
        .value_kind:     global_buffer
      - .offset:         64
        .size:           4
        .value_kind:     by_value
      - .actual_access:  read_only
        .address_space:  global
        .offset:         72
        .size:           8
        .value_kind:     global_buffer
      - .offset:         80
        .size:           8
        .value_kind:     by_value
      - .offset:         88
        .size:           8
        .value_kind:     by_value
      - .offset:         96
        .size:           8
        .value_kind:     by_value
      - .address_space:  global
        .offset:         104
        .size:           8
        .value_kind:     global_buffer
      - .offset:         112
        .size:           8
        .value_kind:     by_value
      - .offset:         120
        .size:           8
        .value_kind:     by_value
      - .offset:         128
        .size:           4
        .value_kind:     by_value
      - .offset:         132
        .size:           4
        .value_kind:     by_value
      - .offset:         136
        .size:           1
        .value_kind:     by_value
    .group_segment_fixed_size: 8192
    .kernarg_segment_align: 8
    .kernarg_segment_size: 140
    .language:       OpenCL C
    .language_version:
      - 2
      - 0
    .max_flat_workgroup_size: 1024
    .name:           _ZN9rocsparseL29bsrmm_general_blockdim_kernelILj32ELj32EliDF16_DF16_ffEEvb20rocsparse_direction_T2_S2_llNS_24const_host_device_scalarIT6_EEPKT1_PKS2_PKT3_S2_PKT4_llS5_PT5_ll16rocsparse_order_21rocsparse_index_base_b
    .private_segment_fixed_size: 0
    .sgpr_count:     53
    .sgpr_spill_count: 0
    .symbol:         _ZN9rocsparseL29bsrmm_general_blockdim_kernelILj32ELj32EliDF16_DF16_ffEEvb20rocsparse_direction_T2_S2_llNS_24const_host_device_scalarIT6_EEPKT1_PKS2_PKT3_S2_PKT4_llS5_PT5_ll16rocsparse_order_21rocsparse_index_base_b.kd
    .uniform_work_group_size: 1
    .uses_dynamic_stack: false
    .vgpr_count:     46
    .vgpr_spill_count: 0
    .wavefront_size: 64
  - .agpr_count:     0
    .args:
      - .offset:         0
        .size:           1
        .value_kind:     by_value
      - .offset:         4
        .size:           4
        .value_kind:     by_value
      - .offset:         8
        .size:           8
        .value_kind:     by_value
      - .offset:         16
        .size:           8
        .value_kind:     by_value
      - .offset:         24
        .size:           8
        .value_kind:     by_value
      - .offset:         32
        .size:           8
        .value_kind:     by_value
      - .offset:         40
        .size:           8
        .value_kind:     by_value
      - .actual_access:  read_only
        .address_space:  global
        .offset:         48
        .size:           8
        .value_kind:     global_buffer
      - .actual_access:  read_only
        .address_space:  global
        .offset:         56
        .size:           8
        .value_kind:     global_buffer
      - .actual_access:  read_only
        .address_space:  global
        .offset:         64
        .size:           8
        .value_kind:     global_buffer
      - .offset:         72
        .size:           8
        .value_kind:     by_value
      - .actual_access:  read_only
        .address_space:  global
        .offset:         80
        .size:           8
        .value_kind:     global_buffer
      - .offset:         88
        .size:           8
        .value_kind:     by_value
      - .offset:         96
        .size:           8
        .value_kind:     by_value
      - .offset:         104
        .size:           8
        .value_kind:     by_value
      - .address_space:  global
        .offset:         112
        .size:           8
        .value_kind:     global_buffer
      - .offset:         120
        .size:           8
        .value_kind:     by_value
      - .offset:         128
        .size:           8
        .value_kind:     by_value
      - .offset:         136
        .size:           4
        .value_kind:     by_value
      - .offset:         140
        .size:           4
        .value_kind:     by_value
      - .offset:         144
        .size:           1
        .value_kind:     by_value
    .group_segment_fixed_size: 8192
    .kernarg_segment_align: 8
    .kernarg_segment_size: 148
    .language:       OpenCL C
    .language_version:
      - 2
      - 0
    .max_flat_workgroup_size: 1024
    .name:           _ZN9rocsparseL29bsrmm_general_blockdim_kernelILj32ELj32EllDF16_DF16_ffEEvb20rocsparse_direction_T2_S2_llNS_24const_host_device_scalarIT6_EEPKT1_PKS2_PKT3_S2_PKT4_llS5_PT5_ll16rocsparse_order_21rocsparse_index_base_b
    .private_segment_fixed_size: 0
    .sgpr_count:     60
    .sgpr_spill_count: 0
    .symbol:         _ZN9rocsparseL29bsrmm_general_blockdim_kernelILj32ELj32EllDF16_DF16_ffEEvb20rocsparse_direction_T2_S2_llNS_24const_host_device_scalarIT6_EEPKT1_PKS2_PKT3_S2_PKT4_llS5_PT5_ll16rocsparse_order_21rocsparse_index_base_b.kd
    .uniform_work_group_size: 1
    .uses_dynamic_stack: false
    .vgpr_count:     56
    .vgpr_spill_count: 0
    .wavefront_size: 64
  - .agpr_count:     0
    .args:
      - .offset:         0
        .size:           1
        .value_kind:     by_value
      - .offset:         4
        .size:           4
        .value_kind:     by_value
      - .offset:         8
        .size:           4
        .value_kind:     by_value
      - .offset:         12
        .size:           4
        .value_kind:     by_value
      - .offset:         16
        .size:           8
        .value_kind:     by_value
      - .offset:         24
        .size:           8
        .value_kind:     by_value
      - .offset:         32
        .size:           8
        .value_kind:     by_value
      - .actual_access:  read_only
        .address_space:  global
        .offset:         40
        .size:           8
        .value_kind:     global_buffer
      - .actual_access:  read_only
        .address_space:  global
        .offset:         48
        .size:           8
        .value_kind:     global_buffer
      - .actual_access:  read_only
        .address_space:  global
        .offset:         56
        .size:           8
        .value_kind:     global_buffer
      - .offset:         64
        .size:           4
        .value_kind:     by_value
      - .actual_access:  read_only
        .address_space:  global
        .offset:         72
        .size:           8
        .value_kind:     global_buffer
      - .offset:         80
        .size:           8
        .value_kind:     by_value
      - .offset:         88
        .size:           8
        .value_kind:     by_value
      - .offset:         96
        .size:           8
        .value_kind:     by_value
      - .address_space:  global
        .offset:         104
        .size:           8
        .value_kind:     global_buffer
      - .offset:         112
        .size:           8
        .value_kind:     by_value
      - .offset:         120
        .size:           8
        .value_kind:     by_value
      - .offset:         128
        .size:           4
        .value_kind:     by_value
      - .offset:         132
        .size:           4
        .value_kind:     by_value
      - .offset:         136
        .size:           1
        .value_kind:     by_value
    .group_segment_fixed_size: 8192
    .kernarg_segment_align: 8
    .kernarg_segment_size: 140
    .language:       OpenCL C
    .language_version:
      - 2
      - 0
    .max_flat_workgroup_size: 1024
    .name:           _ZN9rocsparseL29bsrmm_general_blockdim_kernelILj32ELj32EiiaaiiEEvb20rocsparse_direction_T2_S2_llNS_24const_host_device_scalarIT6_EEPKT1_PKS2_PKT3_S2_PKT4_llS5_PT5_ll16rocsparse_order_21rocsparse_index_base_b
    .private_segment_fixed_size: 0
    .sgpr_count:     54
    .sgpr_spill_count: 0
    .symbol:         _ZN9rocsparseL29bsrmm_general_blockdim_kernelILj32ELj32EiiaaiiEEvb20rocsparse_direction_T2_S2_llNS_24const_host_device_scalarIT6_EEPKT1_PKS2_PKT3_S2_PKT4_llS5_PT5_ll16rocsparse_order_21rocsparse_index_base_b.kd
    .uniform_work_group_size: 1
    .uses_dynamic_stack: false
    .vgpr_count:     42
    .vgpr_spill_count: 0
    .wavefront_size: 64
  - .agpr_count:     0
    .args:
      - .offset:         0
        .size:           1
        .value_kind:     by_value
      - .offset:         4
        .size:           4
        .value_kind:     by_value
      - .offset:         8
        .size:           4
        .value_kind:     by_value
      - .offset:         12
        .size:           4
        .value_kind:     by_value
      - .offset:         16
        .size:           8
        .value_kind:     by_value
      - .offset:         24
        .size:           8
        .value_kind:     by_value
      - .offset:         32
        .size:           8
        .value_kind:     by_value
      - .actual_access:  read_only
        .address_space:  global
        .offset:         40
        .size:           8
        .value_kind:     global_buffer
      - .actual_access:  read_only
        .address_space:  global
        .offset:         48
        .size:           8
        .value_kind:     global_buffer
      - .actual_access:  read_only
        .address_space:  global
        .offset:         56
        .size:           8
        .value_kind:     global_buffer
      - .offset:         64
        .size:           4
        .value_kind:     by_value
      - .actual_access:  read_only
        .address_space:  global
        .offset:         72
        .size:           8
        .value_kind:     global_buffer
      - .offset:         80
        .size:           8
        .value_kind:     by_value
      - .offset:         88
        .size:           8
        .value_kind:     by_value
      - .offset:         96
        .size:           8
        .value_kind:     by_value
      - .address_space:  global
        .offset:         104
        .size:           8
        .value_kind:     global_buffer
      - .offset:         112
        .size:           8
        .value_kind:     by_value
      - .offset:         120
        .size:           8
        .value_kind:     by_value
      - .offset:         128
        .size:           4
        .value_kind:     by_value
      - .offset:         132
        .size:           4
        .value_kind:     by_value
      - .offset:         136
        .size:           1
        .value_kind:     by_value
    .group_segment_fixed_size: 8192
    .kernarg_segment_align: 8
    .kernarg_segment_size: 140
    .language:       OpenCL C
    .language_version:
      - 2
      - 0
    .max_flat_workgroup_size: 1024
    .name:           _ZN9rocsparseL29bsrmm_general_blockdim_kernelILj32ELj32EliaaiiEEvb20rocsparse_direction_T2_S2_llNS_24const_host_device_scalarIT6_EEPKT1_PKS2_PKT3_S2_PKT4_llS5_PT5_ll16rocsparse_order_21rocsparse_index_base_b
    .private_segment_fixed_size: 0
    .sgpr_count:     53
    .sgpr_spill_count: 0
    .symbol:         _ZN9rocsparseL29bsrmm_general_blockdim_kernelILj32ELj32EliaaiiEEvb20rocsparse_direction_T2_S2_llNS_24const_host_device_scalarIT6_EEPKT1_PKS2_PKT3_S2_PKT4_llS5_PT5_ll16rocsparse_order_21rocsparse_index_base_b.kd
    .uniform_work_group_size: 1
    .uses_dynamic_stack: false
    .vgpr_count:     44
    .vgpr_spill_count: 0
    .wavefront_size: 64
  - .agpr_count:     0
    .args:
      - .offset:         0
        .size:           1
        .value_kind:     by_value
      - .offset:         4
        .size:           4
        .value_kind:     by_value
      - .offset:         8
        .size:           8
        .value_kind:     by_value
      - .offset:         16
        .size:           8
        .value_kind:     by_value
      - .offset:         24
        .size:           8
        .value_kind:     by_value
      - .offset:         32
        .size:           8
        .value_kind:     by_value
      - .offset:         40
        .size:           8
        .value_kind:     by_value
      - .actual_access:  read_only
        .address_space:  global
        .offset:         48
        .size:           8
        .value_kind:     global_buffer
      - .actual_access:  read_only
        .address_space:  global
        .offset:         56
        .size:           8
        .value_kind:     global_buffer
      - .actual_access:  read_only
        .address_space:  global
        .offset:         64
        .size:           8
        .value_kind:     global_buffer
      - .offset:         72
        .size:           8
        .value_kind:     by_value
      - .actual_access:  read_only
        .address_space:  global
        .offset:         80
        .size:           8
        .value_kind:     global_buffer
      - .offset:         88
        .size:           8
        .value_kind:     by_value
      - .offset:         96
        .size:           8
        .value_kind:     by_value
      - .offset:         104
        .size:           8
        .value_kind:     by_value
      - .address_space:  global
        .offset:         112
        .size:           8
        .value_kind:     global_buffer
      - .offset:         120
        .size:           8
        .value_kind:     by_value
      - .offset:         128
        .size:           8
        .value_kind:     by_value
      - .offset:         136
        .size:           4
        .value_kind:     by_value
      - .offset:         140
        .size:           4
        .value_kind:     by_value
      - .offset:         144
        .size:           1
        .value_kind:     by_value
    .group_segment_fixed_size: 8192
    .kernarg_segment_align: 8
    .kernarg_segment_size: 148
    .language:       OpenCL C
    .language_version:
      - 2
      - 0
    .max_flat_workgroup_size: 1024
    .name:           _ZN9rocsparseL29bsrmm_general_blockdim_kernelILj32ELj32EllaaiiEEvb20rocsparse_direction_T2_S2_llNS_24const_host_device_scalarIT6_EEPKT1_PKS2_PKT3_S2_PKT4_llS5_PT5_ll16rocsparse_order_21rocsparse_index_base_b
    .private_segment_fixed_size: 0
    .sgpr_count:     56
    .sgpr_spill_count: 0
    .symbol:         _ZN9rocsparseL29bsrmm_general_blockdim_kernelILj32ELj32EllaaiiEEvb20rocsparse_direction_T2_S2_llNS_24const_host_device_scalarIT6_EEPKT1_PKS2_PKT3_S2_PKT4_llS5_PT5_ll16rocsparse_order_21rocsparse_index_base_b.kd
    .uniform_work_group_size: 1
    .uses_dynamic_stack: false
    .vgpr_count:     58
    .vgpr_spill_count: 0
    .wavefront_size: 64
  - .agpr_count:     0
    .args:
      - .offset:         0
        .size:           1
        .value_kind:     by_value
      - .offset:         4
        .size:           4
        .value_kind:     by_value
      - .offset:         8
        .size:           4
        .value_kind:     by_value
      - .offset:         12
        .size:           4
        .value_kind:     by_value
      - .offset:         16
        .size:           8
        .value_kind:     by_value
      - .offset:         24
        .size:           8
        .value_kind:     by_value
      - .offset:         32
        .size:           8
        .value_kind:     by_value
      - .actual_access:  read_only
        .address_space:  global
        .offset:         40
        .size:           8
        .value_kind:     global_buffer
      - .actual_access:  read_only
        .address_space:  global
        .offset:         48
        .size:           8
        .value_kind:     global_buffer
      - .actual_access:  read_only
        .address_space:  global
        .offset:         56
        .size:           8
        .value_kind:     global_buffer
      - .offset:         64
        .size:           4
        .value_kind:     by_value
      - .actual_access:  read_only
        .address_space:  global
        .offset:         72
        .size:           8
        .value_kind:     global_buffer
      - .offset:         80
        .size:           8
        .value_kind:     by_value
      - .offset:         88
        .size:           8
        .value_kind:     by_value
      - .offset:         96
        .size:           8
        .value_kind:     by_value
      - .address_space:  global
        .offset:         104
        .size:           8
        .value_kind:     global_buffer
      - .offset:         112
        .size:           8
        .value_kind:     by_value
      - .offset:         120
        .size:           8
        .value_kind:     by_value
      - .offset:         128
        .size:           4
        .value_kind:     by_value
      - .offset:         132
        .size:           4
        .value_kind:     by_value
      - .offset:         136
        .size:           1
        .value_kind:     by_value
    .group_segment_fixed_size: 8192
    .kernarg_segment_align: 8
    .kernarg_segment_size: 140
    .language:       OpenCL C
    .language_version:
      - 2
      - 0
    .max_flat_workgroup_size: 1024
    .name:           _ZN9rocsparseL29bsrmm_general_blockdim_kernelILj32ELj32EiiaaffEEvb20rocsparse_direction_T2_S2_llNS_24const_host_device_scalarIT6_EEPKT1_PKS2_PKT3_S2_PKT4_llS5_PT5_ll16rocsparse_order_21rocsparse_index_base_b
    .private_segment_fixed_size: 0
    .sgpr_count:     54
    .sgpr_spill_count: 0
    .symbol:         _ZN9rocsparseL29bsrmm_general_blockdim_kernelILj32ELj32EiiaaffEEvb20rocsparse_direction_T2_S2_llNS_24const_host_device_scalarIT6_EEPKT1_PKS2_PKT3_S2_PKT4_llS5_PT5_ll16rocsparse_order_21rocsparse_index_base_b.kd
    .uniform_work_group_size: 1
    .uses_dynamic_stack: false
    .vgpr_count:     44
    .vgpr_spill_count: 0
    .wavefront_size: 64
  - .agpr_count:     0
    .args:
      - .offset:         0
        .size:           1
        .value_kind:     by_value
      - .offset:         4
        .size:           4
        .value_kind:     by_value
      - .offset:         8
        .size:           4
        .value_kind:     by_value
      - .offset:         12
        .size:           4
        .value_kind:     by_value
      - .offset:         16
        .size:           8
        .value_kind:     by_value
      - .offset:         24
        .size:           8
        .value_kind:     by_value
      - .offset:         32
        .size:           8
        .value_kind:     by_value
      - .actual_access:  read_only
        .address_space:  global
        .offset:         40
        .size:           8
        .value_kind:     global_buffer
      - .actual_access:  read_only
        .address_space:  global
        .offset:         48
        .size:           8
        .value_kind:     global_buffer
      - .actual_access:  read_only
        .address_space:  global
        .offset:         56
        .size:           8
        .value_kind:     global_buffer
      - .offset:         64
        .size:           4
        .value_kind:     by_value
      - .actual_access:  read_only
        .address_space:  global
        .offset:         72
        .size:           8
        .value_kind:     global_buffer
      - .offset:         80
        .size:           8
        .value_kind:     by_value
      - .offset:         88
        .size:           8
        .value_kind:     by_value
      - .offset:         96
        .size:           8
        .value_kind:     by_value
      - .address_space:  global
        .offset:         104
        .size:           8
        .value_kind:     global_buffer
      - .offset:         112
        .size:           8
        .value_kind:     by_value
      - .offset:         120
        .size:           8
        .value_kind:     by_value
      - .offset:         128
        .size:           4
        .value_kind:     by_value
      - .offset:         132
        .size:           4
        .value_kind:     by_value
      - .offset:         136
        .size:           1
        .value_kind:     by_value
    .group_segment_fixed_size: 8192
    .kernarg_segment_align: 8
    .kernarg_segment_size: 140
    .language:       OpenCL C
    .language_version:
      - 2
      - 0
    .max_flat_workgroup_size: 1024
    .name:           _ZN9rocsparseL29bsrmm_general_blockdim_kernelILj32ELj32EliaaffEEvb20rocsparse_direction_T2_S2_llNS_24const_host_device_scalarIT6_EEPKT1_PKS2_PKT3_S2_PKT4_llS5_PT5_ll16rocsparse_order_21rocsparse_index_base_b
    .private_segment_fixed_size: 0
    .sgpr_count:     53
    .sgpr_spill_count: 0
    .symbol:         _ZN9rocsparseL29bsrmm_general_blockdim_kernelILj32ELj32EliaaffEEvb20rocsparse_direction_T2_S2_llNS_24const_host_device_scalarIT6_EEPKT1_PKS2_PKT3_S2_PKT4_llS5_PT5_ll16rocsparse_order_21rocsparse_index_base_b.kd
    .uniform_work_group_size: 1
    .uses_dynamic_stack: false
    .vgpr_count:     46
    .vgpr_spill_count: 0
    .wavefront_size: 64
  - .agpr_count:     0
    .args:
      - .offset:         0
        .size:           1
        .value_kind:     by_value
      - .offset:         4
        .size:           4
        .value_kind:     by_value
      - .offset:         8
        .size:           8
        .value_kind:     by_value
      - .offset:         16
        .size:           8
        .value_kind:     by_value
      - .offset:         24
        .size:           8
        .value_kind:     by_value
      - .offset:         32
        .size:           8
        .value_kind:     by_value
      - .offset:         40
        .size:           8
        .value_kind:     by_value
      - .actual_access:  read_only
        .address_space:  global
        .offset:         48
        .size:           8
        .value_kind:     global_buffer
      - .actual_access:  read_only
        .address_space:  global
        .offset:         56
        .size:           8
        .value_kind:     global_buffer
      - .actual_access:  read_only
        .address_space:  global
        .offset:         64
        .size:           8
        .value_kind:     global_buffer
      - .offset:         72
        .size:           8
        .value_kind:     by_value
      - .actual_access:  read_only
        .address_space:  global
        .offset:         80
        .size:           8
        .value_kind:     global_buffer
      - .offset:         88
        .size:           8
        .value_kind:     by_value
      - .offset:         96
        .size:           8
        .value_kind:     by_value
      - .offset:         104
        .size:           8
        .value_kind:     by_value
      - .address_space:  global
        .offset:         112
        .size:           8
        .value_kind:     global_buffer
      - .offset:         120
        .size:           8
        .value_kind:     by_value
      - .offset:         128
        .size:           8
        .value_kind:     by_value
      - .offset:         136
        .size:           4
        .value_kind:     by_value
      - .offset:         140
        .size:           4
        .value_kind:     by_value
      - .offset:         144
        .size:           1
        .value_kind:     by_value
    .group_segment_fixed_size: 8192
    .kernarg_segment_align: 8
    .kernarg_segment_size: 148
    .language:       OpenCL C
    .language_version:
      - 2
      - 0
    .max_flat_workgroup_size: 1024
    .name:           _ZN9rocsparseL29bsrmm_general_blockdim_kernelILj32ELj32EllaaffEEvb20rocsparse_direction_T2_S2_llNS_24const_host_device_scalarIT6_EEPKT1_PKS2_PKT3_S2_PKT4_llS5_PT5_ll16rocsparse_order_21rocsparse_index_base_b
    .private_segment_fixed_size: 0
    .sgpr_count:     58
    .sgpr_spill_count: 0
    .symbol:         _ZN9rocsparseL29bsrmm_general_blockdim_kernelILj32ELj32EllaaffEEvb20rocsparse_direction_T2_S2_llNS_24const_host_device_scalarIT6_EEPKT1_PKS2_PKT3_S2_PKT4_llS5_PT5_ll16rocsparse_order_21rocsparse_index_base_b.kd
    .uniform_work_group_size: 1
    .uses_dynamic_stack: false
    .vgpr_count:     60
    .vgpr_spill_count: 0
    .wavefront_size: 64
amdhsa.target:   amdgcn-amd-amdhsa--gfx950
amdhsa.version:
  - 1
  - 2
...

	.end_amdgpu_metadata
